;; amdgpu-corpus repo=ROCm/aiter kind=harvested arch=n/a opt=n/a

/root/src/amdgpu-assembly/repos/ROCm__aiter/hsa/gfx942/fmha_v3_bwd/bwd_hd64_fp16_causal_br_a32_pssk_group.co:	file format elf64-amdgpu

Disassembly of section .text:

0000000000003e00 <_ZN5aiter43fmha_bwd_hd64_fp16_causal_br_a32_pssk_groupE>:
	s_and_b32 s1, s1, 0xffff                                   // 000000003E00: 8601FF01 0000FFFF
	s_load_dwordx2 s[32:33], s[0:1], 0x0                       // 000000003E08: C0060800 00000000
	s_load_dwordx2 s[36:37], s[0:1], 0x10                      // 000000003E10: C0060900 00000010
	s_load_dwordx2 s[40:41], s[0:1], 0x20                      // 000000003E18: C0060A00 00000020
	s_load_dwordx2 s[8:9], s[0:1], 0x30                        // 000000003E20: C0060200 00000030
	s_load_dwordx2 s[12:13], s[0:1], 0x40                      // 000000003E28: C0060300 00000040
	s_load_dwordx2 s[16:17], s[0:1], 0x50                      // 000000003E30: C0060400 00000050
	s_load_dwordx2 s[20:21], s[0:1], 0x60                      // 000000003E38: C0060500 00000060
	s_load_dwordx2 s[24:25], s[0:1], 0x70                      // 000000003E40: C0060600 00000070
	s_load_dwordx2 s[28:29], s[0:1], 0x80                      // 000000003E48: C0060700 00000080
	s_load_dword s47, s[0:1], 0x90                             // 000000003E50: C0020BC0 00000090
	s_load_dword s48, s[0:1], 0xa0                             // 000000003E58: C0020C00 000000A0
	s_load_dword s78, s[0:1], 0xd0                             // 000000003E60: C0021380 000000D0
	s_load_dword s5, s[0:1], 0xf0                              // 000000003E68: C0020140 000000F0
	s_load_dword s44, s[0:1], 0x100                            // 000000003E70: C0020B00 00000100
	s_load_dword s79, s[0:1], 0x110                            // 000000003E78: C00213C0 00000110
	s_load_dword s6, s[0:1], 0x130                             // 000000003E80: C0020180 00000130
	s_load_dword s52, s[0:1], 0x140                            // 000000003E88: C0020D00 00000140
	s_load_dword s50, s[0:1], 0x150                            // 000000003E90: C0020C80 00000150
	s_load_dword s80, s[0:1], 0x190                            // 000000003E98: C0021400 00000190
	s_load_dword s7, s[0:1], 0x1b0                             // 000000003EA0: C00201C0 000001B0
	s_load_dword s81, s[0:1], 0x1c0                            // 000000003EA8: C0021440 000001C0
	s_load_dword s51, s[0:1], 0x1e0                            // 000000003EB0: C0020CC0 000001E0
	s_load_dword s82, s[0:1], 0x1f0                            // 000000003EB8: C0021480 000001F0
	s_load_dword s83, s[0:1], 0x210                            // 000000003EC0: C00214C0 00000210
	s_load_dword s53, s[0:1], 0x230                            // 000000003EC8: C0020D40 00000230
	s_load_dword s49, s[0:1], 0x240                            // 000000003ED0: C0020C40 00000240
	s_load_dwordx2 s[88:89], s[0:1], 0x250                     // 000000003ED8: C0061600 00000250
	s_load_dwordx2 s[92:93], s[0:1], 0x260                     // 000000003EE0: C0061700 00000260
	s_load_dwordx2 s[96:97], s[0:1], 0x270                     // 000000003EE8: C0061800 00000270
	s_load_dwordx2 s[100:101], s[0:1], 0x280                   // 000000003EF0: C0061900 00000280
	v_lshrrev_b32_e32 v1, 10, v0                               // 000000003EF8: 2002008A
	v_lshrrev_b32_e32 v2, 10, v1                               // 000000003EFC: 2004028A
	v_and_b32_e32 v2, 0x3ff, v2                                // 000000003F00: 260404FF 000003FF
	v_and_b32_e32 v1, 0x3ff, v1                                // 000000003F08: 260202FF 000003FF
	v_and_b32_e32 v0, 0x3ff, v0                                // 000000003F10: 260000FF 000003FF
	v_lshrrev_b32_e32 v3, 6, v0                                // 000000003F18: 20060086
	v_and_b32_e32 v0, 63, v0                                   // 000000003F1C: 260000BF
	s_mov_b32 s2, s2                                           // 000000003F20: BE820002
	s_mov_b32 s3, s3                                           // 000000003F24: BE830003
	s_mov_b32 s4, s4                                           // 000000003F28: BE840004
	v_readfirstlane_b32 s46, v3                                // 000000003F2C: 7E5C0503
	s_waitcnt lgkmcnt(0)                                       // 000000003F30: BF8CC07F
	s_mul_i32 s60, s4, 4                                       // 000000003F34: 923C8404
	s_add_u32 s88, s60, s88                                    // 000000003F38: 8058583C
	s_addc_u32 s89, 0, s89                                     // 000000003F3C: 82595980
	s_load_dwordx2 s[84:85], s[88:89], 0x0                     // 000000003F40: C006152C 00000000
	s_add_u32 s96, s60, s96                                    // 000000003F48: 8060603C
	s_addc_u32 s97, 0, s97                                     // 000000003F4C: 82616180
	s_load_dword s90, s[96:97], 0x0                            // 000000003F50: C00216B0 00000000
	s_add_u32 s92, s60, s92                                    // 000000003F58: 805C5C3C
	s_addc_u32 s93, 0, s93                                     // 000000003F5C: 825D5D80
	s_load_dwordx2 s[86:87], s[92:93], 0x0                     // 000000003F60: C00615AE 00000000
	s_add_u32 s100, s60, s100                                  // 000000003F68: 8064643C
	s_addc_u32 s101, 0, s101                                   // 000000003F6C: 82656580
	s_load_dword s94, s[100:101], 0x0                          // 000000003F70: C00217B2 00000000
	s_mov_b32 s11, 0x20000                                     // 000000003F78: BE8B00FF 00020000
	s_mov_b32 s15, 0x20000                                     // 000000003F80: BE8F00FF 00020000
	s_mov_b32 s19, 0x20000                                     // 000000003F88: BE9300FF 00020000
	s_mov_b32 s23, 0x20000                                     // 000000003F90: BE9700FF 00020000
	s_mov_b32 s27, 0x20000                                     // 000000003F98: BE9B00FF 00020000
	s_mov_b32 s31, 0x20000                                     // 000000003FA0: BE9F00FF 00020000
	s_mov_b32 s35, 0x20000                                     // 000000003FA8: BEA300FF 00020000
	s_mov_b32 s39, 0x20000                                     // 000000003FB0: BEA700FF 00020000
	s_mov_b32 s43, 0x20000                                     // 000000003FB8: BEAB00FF 00020000
	s_and_b32 s9, s9, 0xffff                                   // 000000003FC0: 8609FF09 0000FFFF
	s_and_b32 s13, s13, 0xffff                                 // 000000003FC8: 860DFF0D 0000FFFF
	s_and_b32 s17, s17, 0xffff                                 // 000000003FD0: 8611FF11 0000FFFF
	s_and_b32 s21, s21, 0xffff                                 // 000000003FD8: 8615FF15 0000FFFF
	s_and_b32 s25, s25, 0xffff                                 // 000000003FE0: 8619FF19 0000FFFF
	s_and_b32 s29, s29, 0xffff                                 // 000000003FE8: 861DFF1D 0000FFFF
	s_and_b32 s33, s33, 0xffff                                 // 000000003FF0: 8621FF21 0000FFFF
	s_and_b32 s37, s37, 0xffff                                 // 000000003FF8: 8625FF25 0000FFFF
	s_and_b32 s41, s41, 0xffff                                 // 000000004000: 8629FF29 0000FFFF
	s_or_b32 s9, s9, 0x40000                                   // 000000004008: 8709FF09 00040000
	s_or_b32 s13, s13, 0x40000                                 // 000000004010: 870DFF0D 00040000
	s_or_b32 s17, s17, 0x40000                                 // 000000004018: 8711FF11 00040000
	s_or_b32 s21, s21, 0x40000                                 // 000000004020: 8715FF15 00040000
	s_or_b32 s25, s25, 0x40000                                 // 000000004028: 8719FF19 00040000
	s_or_b32 s29, s29, 0x40000                                 // 000000004030: 871DFF1D 00040000
	s_or_b32 s33, s33, 0x40000                                 // 000000004038: 8721FF21 00040000
	s_or_b32 s37, s37, 0x40000                                 // 000000004040: 8725FF25 00040000
	s_or_b32 s41, s41, 0x40000                                 // 000000004048: 8729FF29 00040000
	v_accvgpr_write_b32 a159, 0                                // 000000004050: D3D9409F 18000080
	v_mov_b32_e32 v232, 0                                      // 000000004058: 7FD00280
	s_mov_b32 s71, s3                                          // 00000000405C: BEC70003
	v_cvt_f32_u32_e32 v32, s44                                 // 000000004060: 7E400C2C
	s_sub_i32 s60, 0, s44                                      // 000000004064: 81BC2C80
	v_rcp_iflag_f32_e32 v32, v32                               // 000000004068: 7E404720
	s_nop 0                                                    // 00000000406C: BF800000
	v_mul_f32_e32 v32, 0x4f7ffffe, v32                         // 000000004070: 0A4040FF 4F7FFFFE
	v_cvt_u32_f32_e32 v32, v32                                 // 000000004078: 7E400F20
	v_mul_lo_u32 v33, s60, v32                                 // 00000000407C: D2850021 0002403C
	v_mul_hi_u32 v33, v32, v33                                 // 000000004084: D2860021 00024320
	v_add_u32_e32 v32, v32, v33                                // 00000000408C: 68404320
	v_mul_hi_u32 v32, s71, v32                                 // 000000004090: D2860020 00024047
	v_mul_lo_u32 v33, v32, s44                                 // 000000004098: D2850021 00005920
	v_sub_u32_e32 v35, s71, v33                                // 0000000040A0: 6A464247
	v_add_u32_e32 v34, 1, v32                                  // 0000000040A4: 68444081
	v_cmp_le_u32_e32 vcc, s44, v35                             // 0000000040A8: 7D96462C
	v_subrev_u32_e32 v33, s44, v35                             // 0000000040AC: 6C42462C
	s_nop 0                                                    // 0000000040B0: BF800000
	v_cndmask_b32_e32 v32, v32, v34, vcc                       // 0000000040B4: 00404520
	v_cndmask_b32_e32 v35, v35, v33, vcc                       // 0000000040B8: 00464323
	v_add_u32_e32 v33, 1, v32                                  // 0000000040BC: 68424081
	v_cmp_le_u32_e32 vcc, s44, v35                             // 0000000040C0: 7D96462C
	s_nop 1                                                    // 0000000040C4: BF800001
	v_cndmask_b32_e32 v35, v32, v33, vcc                       // 0000000040C8: 00464320
	s_nop 3                                                    // 0000000040CC: BF800003
	v_readfirstlane_b32 s45, v35                               // 0000000040D0: 7E5A0523
	s_nop 3                                                    // 0000000040D4: BF800003
	s_waitcnt lgkmcnt(0)                                       // 0000000040D8: BF8CC07F
	s_mul_i32 s61, s2, 0x180                                   // 0000000040DC: 923DFF02 00000180
	s_sub_i32 s87, s87, s86                                    // 0000000040E4: 81D75657
	s_mov_b32 s86, s94                                         // 0000000040E8: BED6005E
	s_sub_i32 s85, s85, s84                                    // 0000000040EC: 81D55455
	s_mov_b32 s84, s90                                         // 0000000040F0: BED4005A
	s_cmp_gt_i32 s85, 0                                        // 0000000040F4: BF028055
	s_cbranch_scc0 label_17DE                                  // 0000000040F8: BF8416FB
	s_mov_b32 s59, 0                                           // 0000000040FC: BEBB0080
	s_mov_b32 s58, s85                                         // 000000004100: BEBA0055
	s_cmp_ge_i32 s61, s87                                      // 000000004104: BF03573D
	s_cbranch_scc1 label_17DE                                  // 000000004108: BF8516F7
	s_mul_i32 s61, s45, s79                                    // 00000000410C: 923D4F2D
	s_mov_b32 s54, s61                                         // 000000004110: BEB6003D
	s_add_u32 s12, s54, s12                                    // 000000004114: 800C0C36
	s_addc_u32 s13, 0, s13                                     // 000000004118: 820D0D80
	s_mul_i32 s60, s86, s6                                     // 00000000411C: 923C0656
	s_mul_hi_u32 s61, s86, s6                                  // 000000004120: 963D0656
	s_and_b32 s61, s61, 0xffff                                 // 000000004124: 863DFF3D 0000FFFF
	s_add_u32 s12, s12, s60                                    // 00000000412C: 800C3C0C
	s_addc_u32 s13, s13, s61                                   // 000000004130: 820D3D0D
	s_mul_i32 s61, s45, s80                                    // 000000004134: 923D502D
	s_mov_b32 s54, s61                                         // 000000004138: BEB6003D
	s_add_u32 s16, s54, s16                                    // 00000000413C: 80101036
	s_addc_u32 s17, 0, s17                                     // 000000004140: 82111180
	s_mul_i32 s60, s86, s7                                     // 000000004144: 923C0756
	s_mul_hi_u32 s61, s86, s7                                  // 000000004148: 963D0756
	s_and_b32 s61, s61, 0xffff                                 // 00000000414C: 863DFF3D 0000FFFF
	s_add_u32 s16, s16, s60                                    // 000000004154: 80103C10
	s_addc_u32 s17, s17, s61                                   // 000000004158: 82113D11
	s_mul_i32 s61, s3, s78                                     // 00000000415C: 923D4E03
	s_mov_b32 s55, s61                                         // 000000004160: BEB7003D
	s_add_u32 s8, s55, s8                                      // 000000004164: 80080837
	s_addc_u32 s9, 0, s9                                       // 000000004168: 82090980
	s_mul_i32 s60, s84, s5                                     // 00000000416C: 923C0554
	s_mul_hi_u32 s61, s84, s5                                  // 000000004170: 963D0554
	s_and_b32 s61, s61, 0xffff                                 // 000000004174: 863DFF3D 0000FFFF
	s_add_u32 s8, s8, s60                                      // 00000000417C: 80083C08
	s_addc_u32 s9, s9, s61                                     // 000000004180: 82093D09
	s_mul_i32 s61, s3, s81                                     // 000000004184: 923D5103
	s_mov_b32 s56, s61                                         // 000000004188: BEB8003D
	s_add_u32 s20, s56, s20                                    // 00000000418C: 80141438
	s_addc_u32 s21, 0, s21                                     // 000000004190: 82151580
	s_mul_i32 s60, s84, s51                                    // 000000004194: 923C3354
	s_mul_hi_u32 s61, s84, s51                                 // 000000004198: 963D3354
	s_and_b32 s61, s61, 0xffff                                 // 00000000419C: 863DFF3D 0000FFFF
	s_add_u32 s20, s20, s60                                    // 0000000041A4: 80143C14
	s_addc_u32 s21, s21, s61                                   // 0000000041A8: 82153D15
	s_mul_i32 s62, 4, s84                                      // 0000000041AC: 923E5484
	s_mul_i32 s61, s3, s49                                     // 0000000041B0: 923D3103
	s_add_u32 s65, s61, s62                                    // 0000000041B4: 80413E3D
	s_mov_b32 s26, s85                                         // 0000000041B8: BE9A0055
	s_mov_b32 s30, s85                                         // 0000000041BC: BE9E0055
	s_add_u32 s24, s65, s24                                    // 0000000041C0: 80181841
	s_addc_u32 s25, 0, s25                                     // 0000000041C4: 82191980
	s_add_u32 s28, s65, s28                                    // 0000000041C8: 801C1C41
	s_addc_u32 s29, 0, s29                                     // 0000000041CC: 821D1D80
	s_mul_i32 s61, s3, s82                                     // 0000000041D0: 923D5203
	s_mul_i32 s62, s86, s52                                    // 0000000041D4: 923E3456
	s_add_u32 s60, s61, s62                                    // 0000000041D8: 803C3E3D
	s_mul_hi_u32 s61, s86, s52                                 // 0000000041DC: 963D3456
	s_and_b32 s61, s61, 0xffff                                 // 0000000041E0: 863DFF3D 0000FFFF
	s_add_u32 s36, s60, s36                                    // 0000000041E8: 8024243C
	s_addc_u32 s37, s61, s37                                   // 0000000041EC: 8225253D
	s_mul_i32 s60, s87, s52                                    // 0000000041F0: 923C3457
	s_lshr_b32 s60, s60, 2                                     // 0000000041F4: 8F3C823C
	s_mov_b32 s38, s60                                         // 0000000041F8: BEA6003C
	s_mul_i32 s61, s3, s83                                     // 0000000041FC: 923D5303
	s_mul_i32 s62, s86, s53                                    // 000000004200: 923E3556
	s_add_u32 s60, s61, s62                                    // 000000004204: 803C3E3D
	s_mul_hi_u32 s61, s86, s53                                 // 000000004208: 963D3556
	s_and_b32 s61, s61, 0xffff                                 // 00000000420C: 863DFF3D 0000FFFF
	s_add_u32 s40, s60, s40                                    // 000000004214: 8028283C
	s_addc_u32 s41, s61, s41                                   // 000000004218: 8229293D
	s_mul_i32 s60, s87, s53                                    // 00000000421C: 923C3557
	s_lshr_b32 s60, s60, 2                                     // 000000004220: 8F3C823C
	s_mov_b32 s42, s60                                         // 000000004224: BEAA003C
	s_mul_i32 s60, 64, s65                                     // 000000004228: 923C41C0
	s_mul_hi_u32 s61, 64, s65                                  // 00000000422C: 963D41C0
	s_and_b32 s61, s61, 0xffff                                 // 000000004230: 863DFF3D 0000FFFF
	s_add_u32 s32, s60, s32                                    // 000000004238: 8020203C
	s_addc_u32 s33, s61, s33                                   // 00000000423C: 8221213D
	s_mul_i32 s60, 64, s85                                     // 000000004240: 923C55C0
	s_mov_b32 s34, s60                                         // 000000004244: BEA2003C
	s_mov_b32 s90, s8                                          // 000000004248: BEDA0008
	s_mov_b32 s94, s12                                         // 00000000424C: BEDE000C
	s_mov_b32 s96, s16                                         // 000000004250: BEE00010
	s_mov_b32 s98, s20                                         // 000000004254: BEE20014
	s_mov_b32 s91, s9                                          // 000000004258: BEDB0009
	s_mov_b32 s95, s13                                         // 00000000425C: BEDF000D
	s_mov_b32 s97, s17                                         // 000000004260: BEE10011
	s_mov_b32 s99, s21                                         // 000000004264: BEE30015
	s_add_u32 s71, 0xbf, s87                                   // 000000004268: 804757FF 000000BF
	s_mov_b32 s74, 0xc0                                        // 000000004270: BECA00FF 000000C0
	v_cvt_f32_u32_e32 v32, s74                                 // 000000004278: 7E400C4A
	s_sub_i32 s60, 0, s74                                      // 00000000427C: 81BC4A80
	v_rcp_iflag_f32_e32 v32, v32                               // 000000004280: 7E404720
	s_nop 0                                                    // 000000004284: BF800000
	v_mul_f32_e32 v32, 0x4f7ffffe, v32                         // 000000004288: 0A4040FF 4F7FFFFE
	v_cvt_u32_f32_e32 v32, v32                                 // 000000004290: 7E400F20
	v_mul_lo_u32 v33, s60, v32                                 // 000000004294: D2850021 0002403C
	v_mul_hi_u32 v33, v32, v33                                 // 00000000429C: D2860021 00024320
	v_add_u32_e32 v32, v32, v33                                // 0000000042A4: 68404320
	v_mul_hi_u32 v32, s71, v32                                 // 0000000042A8: D2860020 00024047
	v_mul_lo_u32 v33, v32, s74                                 // 0000000042B0: D2850021 00009520
	v_sub_u32_e32 v35, s71, v33                                // 0000000042B8: 6A464247
	v_add_u32_e32 v34, 1, v32                                  // 0000000042BC: 68444081
	v_cmp_le_u32_e32 vcc, s74, v35                             // 0000000042C0: 7D96464A
	v_subrev_u32_e32 v33, s74, v35                             // 0000000042C4: 6C42464A
	s_nop 0                                                    // 0000000042C8: BF800000
	v_cndmask_b32_e32 v32, v32, v34, vcc                       // 0000000042CC: 00404520
	v_cndmask_b32_e32 v35, v35, v33, vcc                       // 0000000042D0: 00464323
	v_add_u32_e32 v33, 1, v32                                  // 0000000042D4: 68424081
	v_cmp_le_u32_e32 vcc, s74, v35                             // 0000000042D8: 7D96464A
	s_nop 1                                                    // 0000000042DC: BF800001
	v_cndmask_b32_e32 v35, v32, v33, vcc                       // 0000000042E0: 00464320
	s_nop 3                                                    // 0000000042E4: BF800003
	v_readfirstlane_b32 s77, v35                               // 0000000042E8: 7E9A0523
	s_nop 3                                                    // 0000000042EC: BF800003
	v_mov_b32_e32 v32, s47                                     // 0000000042F0: 7E40022F
	v_mul_f32_e32 v32, s48, v32                                // 0000000042F4: 0A404030
	s_mov_b32 s63, 0x5040100                                   // 0000000042F8: BEBF00FF 05040100
	s_mov_b32 s64, 0x7060302                                   // 000000004300: BEC000FF 07060302
	v_readfirstlane_b32 s57, v32                               // 000000004308: 7E720520
	v_mov_b32_e32 v34, 0x3020706                               // 00000000430C: 7E4402FF 03020706
	v_mov_b32_e32 v32, s63                                     // 000000004314: 7E40023F
	v_and_b32_e32 v33, 1, v0                                   // 000000004318: 26420081
	v_cmp_eq_u32_e32 vcc, 1, v33                               // 00000000431C: 7D944281
	s_mov_b32 s67, 0x800                                       // 000000004320: BEC300FF 00000800
	v_cndmask_b32_e32 v17, v32, v34, vcc                       // 000000004328: 00224520
	s_cmp_lt_u32 s46, 2                                        // 00000000432C: BF0A822E
	s_cselect_b32 s24, s24, s28                                // 000000004330: 85181C18
	s_cselect_b32 s25, s25, s29                                // 000000004334: 85191D19
	s_cselect_b32 s26, s26, s30                                // 000000004338: 851A1E1A
	s_cselect_b32 s27, s27, s31                                // 00000000433C: 851B1F1B
	s_lshr_b32 s60, s46, 1                                     // 000000004340: 8F3C812E
	s_lshl_b32 s60, s60, 8                                     // 000000004344: 8E3C883C
	s_add_u32 s78, 0x9a00, s60                                 // 000000004348: 804E3CFF 00009A00
	s_add_u32 s79, 0x200, s78                                  // 000000004350: 804F4EFF 00000200
	s_mov_b32 m0, s78                                          // 000000004358: BEFC004E
	s_mov_b32 s75, 0                                           // 00000000435C: BECB0080
	s_mov_b32 s76, 1                                           // 000000004360: BECC0081
	s_lshl_b32 s60, s2, 1                                      // 000000004364: 8E3C8102
	s_add_u32 s60, 1, s60                                      // 000000004368: 803C3C81
	s_cmp_ge_i32 s60, s77                                      // 00000000436C: BF034D3C
	s_cselect_b32 s76, s76, 2                                  // 000000004370: 854C824C

0000000000004374 <label_015D>:
	s_mov_b32 m0, s78                                          // 000000004374: BEFC004E
	s_mov_b32 s66, 0                                           // 000000004378: BEC20080
	v_mov_b32_e32 v178, 0xff800000                             // 00000000437C: 7F6402FF FF800000
	s_mov_b32 s74, 0                                           // 000000004384: BECA0080
	s_mul_i32 s68, 8, s5                                       // 000000004388: 92440588
	s_mul_i32 s100, 8, s51                                     // 00000000438C: 92643388
	s_mov_b32 s69, 32                                          // 000000004390: BEC500A0
	s_mul_i32 s81, 0xc0, s2                                    // 000000004394: 925102FF 000000C0
	s_sub_i32 s60, s87, s85                                    // 00000000439C: 81BC5557
	s_sub_i32 s71, s81, s60                                    // 0000000043A0: 81C73C51
	s_cmp_ge_i32 s71, 0                                        // 0000000043A4: BF038047
	s_cselect_b32 s59, s71, 0                                  // 0000000043A8: 853B8047
	s_add_i32 s60, s71, 0xc0                                   // 0000000043AC: 813CFF47 000000C0
	s_cmp_le_i32 s60, 0                                        // 0000000043B4: BF05803C
	s_cbranch_scc0 label_0171                                  // 0000000043B8: BF840002
	s_mov_b32 s80, 0                                           // 0000000043BC: BED00080
	s_branch label_017D                                        // 0000000043C0: BF82000C

00000000000043c4 <label_0171>:
	s_mov_b32 s80, 1                                           // 0000000043C4: BED00081
	s_sub_i32 s60, s59, s71                                    // 0000000043C8: 81BC473B
	v_lshrrev_b32_e32 v32, 4, v0                               // 0000000043CC: 20400084
	v_mul_i32_i24_e32 v32, 4, v32                              // 0000000043D0: 0C404084
	v_add_i32 v32, v32, s60                                    // 0000000043D4: D29C0020 00007920
	v_and_b32_e32 v33, 15, v0                                  // 0000000043DC: 2642008F
	v_mul_i32_i24_e64 v34, s46, 16                             // 0000000043E0: D1060022 0001202E
	v_add_u32_e32 v33, v33, v34                                // 0000000043E8: 68424521
	v_sub_i32 v232, v33, v32                                   // 0000000043EC: D29D00E8 00024121

00000000000043f4 <label_017D>:
	s_mul_i32 s54, s6, s81                                     // 0000000043F4: 92365106
	s_sub_i32 s61, s87, s81                                    // 0000000043F8: 81BD5157
	s_mul_i32 s62, s6, s61                                     // 0000000043FC: 923E3D06
	s_lshr_b32 s62, s62, 2                                     // 000000004400: 8F3E823E
	s_mov_b32 s14, s62                                         // 000000004404: BE8E003E
	s_add_u32 s12, s54, s94                                    // 000000004408: 800C5E36
	s_addc_u32 s13, 0, s95                                     // 00000000440C: 820D5F80
	s_mul_i32 s54, s7, s81                                     // 000000004410: 92365107
	s_mul_i32 s62, s7, s61                                     // 000000004414: 923E3D07
	s_lshr_b32 s62, s62, 2                                     // 000000004418: 8F3E823E
	s_mov_b32 s18, s62                                         // 00000000441C: BE92003E
	s_add_u32 s16, s54, s96                                    // 000000004420: 80106036
	s_addc_u32 s17, 0, s97                                     // 000000004424: 82116180
	s_mov_b32 s71, s6                                          // 000000004428: BEC70006
	v_lshrrev_b32_e32 v32, 4, v0                               // 00000000442C: 20400084
	v_and_b32_e32 v33, 1, v32                                  // 000000004430: 26424081
	v_lshlrev_b32_e32 v33, 1, v33                              // 000000004434: 24424281
	v_mul_i32_i24_e32 v33, s71, v33                            // 000000004438: 0C424247
	v_and_b32_e32 v34, 2, v32                                  // 00000000443C: 26444082
	v_lshlrev_b32_e32 v34, 5, v34                              // 000000004440: 24444485
	v_add_u32_e32 v33, v34, v33                                // 000000004444: 68424322
	v_and_b32_e32 v32, 15, v0                                  // 000000004448: 2640008F
	v_lshlrev_b32_e32 v32, 2, v32                              // 00000000444C: 24404082
	v_add_u32_e32 v1, v32, v33                                 // 000000004450: 68024320
	s_mul_i32 s60, s46, s71                                    // 000000004454: 923C472E
	s_mul_i32 s60, s60, 4                                      // 000000004458: 923C843C
	v_add_u32_e32 v1, s60, v1                                  // 00000000445C: 6802023C
	v_add_u32_e32 v2, s71, v1                                  // 000000004460: 68040247
	s_mul_i32 s60, 16, s71                                     // 000000004464: 923C4790
	v_add_u32_e32 v3, s60, v1                                  // 000000004468: 6806023C
	v_add_u32_e32 v4, s60, v2                                  // 00000000446C: 6808043C
	s_mov_b32 s71, s7                                          // 000000004470: BEC70007
	v_lshrrev_b32_e32 v32, 4, v0                               // 000000004474: 20400084
	v_and_b32_e32 v33, 1, v32                                  // 000000004478: 26424081
	v_lshlrev_b32_e32 v33, 1, v33                              // 00000000447C: 24424281
	v_mul_i32_i24_e32 v33, s71, v33                            // 000000004480: 0C424247
	v_and_b32_e32 v34, 2, v32                                  // 000000004484: 26444082
	v_lshlrev_b32_e32 v34, 5, v34                              // 000000004488: 24444485
	v_add_u32_e32 v33, v34, v33                                // 00000000448C: 68424322
	v_and_b32_e32 v32, 15, v0                                  // 000000004490: 2640008F
	v_lshlrev_b32_e32 v32, 2, v32                              // 000000004494: 24404082
	v_add_u32_e32 v228, v32, v33                               // 000000004498: 69C84320
	s_mul_i32 s60, s46, s71                                    // 00000000449C: 923C472E
	s_mul_i32 s60, s60, 4                                      // 0000000044A0: 923C843C
	v_add_u32_e32 v228, s60, v228                              // 0000000044A4: 69C9C83C
	v_add_u32_e32 v229, s71, v228                              // 0000000044A8: 69CBC847
	s_mul_i32 s60, 16, s71                                     // 0000000044AC: 923C4790
	v_add_u32_e32 v230, s60, v228                              // 0000000044B0: 69CDC83C
	v_add_u32_e32 v231, s60, v229                              // 0000000044B4: 69CFCA3C
	v_lshrrev_b32_e32 v1, 2, v1                                // 0000000044B8: 20020282
	v_lshrrev_b32_e32 v2, 2, v2                                // 0000000044BC: 20040482
	v_lshrrev_b32_e32 v228, 2, v228                            // 0000000044C0: 21C9C882
	v_lshrrev_b32_e32 v229, 2, v229                            // 0000000044C4: 21CBCA82
	s_mov_b32 s70, s52                                         // 0000000044C8: BEC60034
	v_lshrrev_b32_e32 v32, 3, v0                               // 0000000044CC: 20400083
	v_mul_i32_i24_e32 v5, s70, v32                             // 0000000044D0: 0C0A4046
	v_lshrrev_b32_e32 v5, 2, v5                                // 0000000044D4: 200A0A82
	v_and_b32_e32 v32, 7, v0                                   // 0000000044D8: 26400087
	v_lshlrev_b32_e32 v33, 2, v32                              // 0000000044DC: 24424082
	v_add_u32_e32 v5, v33, v5                                  // 0000000044E0: 680A0B21
	s_mul_i32 s60, 16, s70                                     // 0000000044E4: 923C4690
	s_mul_i32 s60, s46, s60                                    // 0000000044E8: 923C3C2E
	v_lshlrev_b32_e32 v5, 2, v5                                // 0000000044EC: 240A0A82
	v_add_u32_e32 v5, s60, v5                                  // 0000000044F0: 680A0A3C
	s_mul_i32 s60, s52, s81                                    // 0000000044F4: 923C5134
	v_add_u32_e32 v5, s60, v5                                  // 0000000044F8: 680A0A3C
	v_lshrrev_b32_e32 v5, 2, v5                                // 0000000044FC: 200A0A82
	s_mov_b32 s70, s53                                         // 000000004500: BEC60035
	v_lshrrev_b32_e32 v32, 3, v0                               // 000000004504: 20400083
	v_mul_i32_i24_e32 v10, s70, v32                            // 000000004508: 0C144046
	v_lshrrev_b32_e32 v10, 2, v10                              // 00000000450C: 20141482
	v_and_b32_e32 v32, 7, v0                                   // 000000004510: 26400087
	v_lshlrev_b32_e32 v33, 2, v32                              // 000000004514: 24424082
	v_add_u32_e32 v10, v33, v10                                // 000000004518: 68141521
	s_mul_i32 s60, 16, s70                                     // 00000000451C: 923C4690
	s_mul_i32 s60, s46, s60                                    // 000000004520: 923C3C2E
	v_lshlrev_b32_e32 v10, 2, v10                              // 000000004524: 24141482
	v_add_u32_e32 v10, s60, v10                                // 000000004528: 6814143C
	s_mul_i32 s60, s53, s81                                    // 00000000452C: 923C5135
	v_add_u32_e32 v10, s60, v10                                // 000000004530: 6814143C
	v_lshrrev_b32_e32 v10, 2, v10                              // 000000004534: 20141482
	s_cmp_ge_i32 s59, s85                                      // 000000004538: BF03553B
	s_cselect_b32 s59, s85, s59                                // 00000000453C: 853B3B55
	s_add_u32 s73, 32, s59                                     // 000000004540: 80493BA0
	s_mul_i32 s55, s5, s59                                     // 000000004544: 92373B05
	s_sub_i32 s61, s85, s59                                    // 000000004548: 81BD3B55
	s_mul_i32 s62, s5, s61                                     // 00000000454C: 923E3D05
	s_lshr_b32 s62, s62, 2                                     // 000000004550: 8F3E823E
	s_mov_b32 s10, s62                                         // 000000004554: BE8A003E
	s_add_u32 s8, s55, s90                                     // 000000004558: 80085A37
	s_addc_u32 s9, 0, s91                                      // 00000000455C: 82095B80
	s_mul_i32 s56, s51, s59                                    // 000000004560: 92383B33
	s_mul_i32 s62, s51, s61                                    // 000000004564: 923E3D33
	s_lshr_b32 s62, s62, 2                                     // 000000004568: 8F3E823E
	s_mov_b32 s22, s62                                         // 00000000456C: BE96003E
	s_add_u32 s20, s56, s98                                    // 000000004570: 80146238
	s_addc_u32 s21, 0, s99                                     // 000000004574: 82156380
	s_mul_i32 s65, s59, 4                                      // 000000004578: 9241843B
	v_and_b32_e32 v11, 31, v0                                  // 00000000457C: 2616009F
	v_lshlrev_b32_e32 v11, 2, v11                              // 000000004580: 24161682
	v_add_u32_e32 v11, s65, v11                                // 000000004584: 68161641
	v_lshrrev_b32_e32 v11, 2, v11                              // 000000004588: 20161682
	v_lshrrev_b32_e32 v32, 5, v0                               // 00000000458C: 20400085
	v_mul_i32_i24_e32 v6, 0x80, v32                            // 000000004590: 0C0C40FF 00000080
	v_and_b32_e32 v32, 31, v0                                  // 000000004598: 2640009F
	v_add_u32_e32 v6, v32, v6                                  // 00000000459C: 680C0D20
	s_mul_i32 s60, s46, 0x100                                  // 0000000045A0: 923CFF2E 00000100
	v_add_u32_e32 v6, s60, v6                                  // 0000000045A8: 680C0C3C
	v_lshlrev_b32_e32 v6, 2, v6                                // 0000000045AC: 240C0C82
	v_add_u32_e32 v7, 0x100, v6                                // 0000000045B0: 680E0CFF 00000100
	v_add_u32_e32 v8, 0x1000, v6                               // 0000000045B8: 68100CFF 00001000
	v_add_u32_e32 v9, 0x1000, v7                               // 0000000045C0: 68120EFF 00001000
	s_mul_i32 s60, 64, s65                                     // 0000000045C8: 923C41C0
	v_add_u32_e32 v6, s60, v6                                  // 0000000045CC: 680C0C3C
	v_lshrrev_b32_e32 v6, 2, v6                                // 0000000045D0: 200C0C82
	v_add_u32_e32 v7, s60, v7                                  // 0000000045D4: 680E0E3C
	v_lshrrev_b32_e32 v7, 2, v7                                // 0000000045D8: 200E0E82
	v_add_u32_e32 v8, s60, v8                                  // 0000000045DC: 6810103C
	v_lshrrev_b32_e32 v8, 2, v8                                // 0000000045E0: 20101082
	v_add_u32_e32 v9, s60, v9                                  // 0000000045E4: 6812123C
	v_lshrrev_b32_e32 v9, 2, v9                                // 0000000045E8: 20121282
	s_mul_i32 s60, 3, s2                                       // 0000000045EC: 923C0283
	s_add_u32 s61, s87, 63                                     // 0000000045F0: 803DBF57
	s_lshr_b32 s61, s61, 6                                     // 0000000045F4: 8F3D863D
	s_sub_i32 s72, s61, s60                                    // 0000000045F8: 81C83C3D
	s_cmp_lt_i32 s72, 3                                        // 0000000045FC: BF048348
	s_cselect_b32 s72, s72, 3                                  // 000000004600: 85488348
	s_mul_i32 s60, 0xc0, s2                                    // 000000004604: 923C02FF 000000C0
	s_sub_i32 s84, s87, s60                                    // 00000000460C: 81D43C57
	v_and_b32_e32 v32, 31, v0                                  // 000000004610: 2640009F
	v_lshrrev_b32_e32 v32, 1, v32                              // 000000004614: 20404081
	v_and_b32_e32 v33, 1, v32                                  // 000000004618: 26424081
	v_lshlrev_b32_e32 v33, 4, v33                              // 00000000461C: 24424284
	v_and_b32_e32 v34, 2, v32                                  // 000000004620: 26444082
	v_lshlrev_b32_e32 v34, 2, v34                              // 000000004624: 24444482
	v_add_u32_e32 v33, v34, v33                                // 000000004628: 68424322
	v_and_b32_e32 v34, 12, v32                                 // 00000000462C: 2644408C
	v_lshrrev_b32_e32 v34, 1, v34                              // 000000004630: 20444481
	v_add_u32_e32 v33, v34, v33                                // 000000004634: 68424322
	v_lshrrev_b32_e32 v32, 5, v0                               // 000000004638: 20400085
	v_mul_i32_i24_e32 v34, 0x80, v32                           // 00000000463C: 0C4440FF 00000080
	v_add_u32_e32 v33, v34, v33                                // 000000004644: 68424322
	v_and_b32_e32 v34, 1, v0                                   // 000000004648: 26440081
	v_add_u32_e32 v13, v34, v33                                // 00000000464C: 681A4322
	s_mul_i32 s60, s46, 32                                     // 000000004650: 923CA02E
	v_add_u32_e32 v13, s60, v13                                // 000000004654: 681A1A3C
	v_lshlrev_b32_e32 v13, 2, v13                              // 000000004658: 241A1A82
	v_lshrrev_b32_e32 v32, 4, v0                               // 00000000465C: 20400084
	v_and_b32_e32 v33, 1, v32                                  // 000000004660: 26424081
	v_lshlrev_b32_e32 v33, 4, v33                              // 000000004664: 24424284
	v_and_b32_e32 v34, 2, v32                                  // 000000004668: 26444082
	v_mul_i32_i24_e32 v34, 4, v34                              // 00000000466C: 0C444484
	v_add_u32_e32 v33, v34, v33                                // 000000004670: 68424322
	v_and_b32_e32 v32, 15, v0                                  // 000000004674: 2640008F
	v_lshrrev_b32_e32 v34, 2, v32                              // 000000004678: 20444082
	v_lshlrev_b32_e32 v34, 5, v34                              // 00000000467C: 24444485
	v_add_u32_e32 v33, v34, v33                                // 000000004680: 68424322
	v_and_b32_e32 v32, 3, v0                                   // 000000004684: 26400083
	v_and_b32_e32 v34, 1, v32                                  // 000000004688: 26444081
	v_mul_i32_i24_e32 v34, 0x108, v34                          // 00000000468C: 0C4444FF 00000108
	v_add_u32_e32 v33, v34, v33                                // 000000004694: 68424322
	v_and_b32_e32 v34, 2, v32                                  // 000000004698: 26444082
	v_lshlrev_b32_e32 v34, 1, v34                              // 00000000469C: 24444481
	v_add_u32_e32 v12, v34, v33                                // 0000000046A0: 68184322
	v_lshlrev_b32_e32 v12, 2, v12                              // 0000000046A4: 24181882
	s_mul_i32 s60, s46, 0x880                                  // 0000000046A8: 923CFF2E 00000880
	v_add_u32_e32 v24, s60, v12                                // 0000000046B0: 6830183C
	v_lshrrev_b32_e32 v32, 5, v0                               // 0000000046B4: 20400085
	v_mul_i32_i24_e32 v15, 0x80, v32                           // 0000000046B8: 0C1E40FF 00000080
	v_and_b32_e32 v32, 31, v0                                  // 0000000046C0: 2640009F
	v_and_b32_e32 v33, 7, v32                                  // 0000000046C4: 26424087
	v_and_b32_e32 v34, 1, v33                                  // 0000000046C8: 26444281
	v_lshlrev_b32_e32 v34, 2, v34                              // 0000000046CC: 24444482
	v_add_u32_e32 v15, v34, v15                                // 0000000046D0: 681E1F22
	v_and_b32_e32 v34, 2, v33                                  // 0000000046D4: 26444282
	v_lshlrev_b32_e32 v34, 3, v34                              // 0000000046D8: 24444483
	v_add_u32_e32 v15, v34, v15                                // 0000000046DC: 681E1F22
	v_and_b32_e32 v34, 4, v33                                  // 0000000046E0: 26444284
	v_lshlrev_b32_e32 v34, 1, v34                              // 0000000046E4: 24444481
	v_add_u32_e32 v15, v34, v15                                // 0000000046E8: 681E1F22
	v_lshrrev_b32_e32 v33, 3, v32                              // 0000000046EC: 20424083
	v_and_b32_e32 v34, 1, v33                                  // 0000000046F0: 26444281
	v_lshlrev_b32_e32 v34, 1, v34                              // 0000000046F4: 24444481
	v_add_u32_e32 v15, v34, v15                                // 0000000046F8: 681E1F22
	v_and_b32_e32 v34, 2, v33                                  // 0000000046FC: 26444282
	v_lshrrev_b32_e32 v34, 1, v34                              // 000000004700: 20444481
	v_add_u32_e32 v15, v34, v15                                // 000000004704: 681E1F22
	s_mul_i32 s60, s46, 32                                     // 000000004708: 923CA02E
	v_add_u32_e32 v15, s60, v15                                // 00000000470C: 681E1E3C
	v_lshlrev_b32_e32 v15, 2, v15                              // 000000004710: 241E1E82
	v_and_b32_e32 v32, 15, v0                                  // 000000004714: 2640008F
	v_and_b32_e32 v34, 1, v32                                  // 000000004718: 26444081
	v_mul_i32_i24_e32 v14, 0x108, v34                          // 00000000471C: 0C1C44FF 00000108
	v_and_b32_e32 v34, 2, v32                                  // 000000004724: 26444082
	v_lshlrev_b32_e32 v34, 1, v34                              // 000000004728: 24444481
	v_add_u32_e32 v14, v34, v14                                // 00000000472C: 681C1D22
	v_and_b32_e32 v34, 4, v32                                  // 000000004730: 26444084
	v_lshlrev_b32_e32 v34, 2, v34                              // 000000004734: 24444482
	v_add_u32_e32 v14, v34, v14                                // 000000004738: 681C1D22
	v_and_b32_e32 v34, 8, v32                                  // 00000000473C: 26444088
	v_add_u32_e32 v14, v34, v14                                // 000000004740: 681C1D22
	v_lshrrev_b32_e32 v32, 4, v0                               // 000000004744: 20400084
	v_and_b32_e32 v34, 1, v32                                  // 000000004748: 26444081
	v_lshlrev_b32_e32 v34, 5, v34                              // 00000000474C: 24444485
	v_add_u32_e32 v14, v34, v14                                // 000000004750: 681C1D22
	v_and_b32_e32 v33, 2, v32                                  // 000000004754: 26424082
	v_mul_i32_i24_e32 v34, 32, v33                             // 000000004758: 0C4442A0
	v_mul_i32_i24_e32 v33, 0x110, v33                          // 00000000475C: 0C4242FF 00000110
	v_add_u32_e32 v25, v33, v14                                // 000000004764: 68321D21
	v_add_u32_e32 v14, v34, v14                                // 000000004768: 681C1D22
	v_lshlrev_b32_e32 v14, 2, v14                              // 00000000476C: 241C1C82
	v_lshlrev_b32_e32 v25, 2, v25                              // 000000004770: 24323282
	s_and_b32 s60, 1, s46                                      // 000000004774: 863C2E81
	s_mul_i32 s60, s60, 0x200                                  // 000000004778: 923CFF3C 00000200
	v_add_u32_e32 v25, s60, v25                                // 000000004780: 6832323C
	v_lshrrev_b32_e32 v32, 4, v0                               // 000000004784: 20400084
	v_mul_i32_i24_e32 v23, 4, v32                              // 000000004788: 0C2E4084
	v_and_b32_e32 v33, 3, v0                                   // 00000000478C: 26420083
	v_add_u32_e32 v23, v33, v23                                // 000000004790: 682E2F21
	v_lshlrev_b32_e32 v23, 2, v23                              // 000000004794: 242E2E82
	v_lshrrev_b32_e32 v32, 4, v0                               // 000000004798: 20400084
	v_and_b32_e32 v33, 1, v32                                  // 00000000479C: 26424081
	v_mul_i32_i24_e32 v21, 0x100, v33                          // 0000000047A0: 0C2A42FF 00000100
	v_and_b32_e32 v33, 2, v32                                  // 0000000047A8: 26424082
	v_mul_i32_i24_e32 v33, 64, v33                             // 0000000047AC: 0C4242C0
	v_add_u32_e32 v21, v33, v21                                // 0000000047B0: 682A2B21
	v_and_b32_e32 v32, 15, v0                                  // 0000000047B4: 2640008F
	v_mul_i32_i24_e32 v33, 2, v32                              // 0000000047B8: 0C424082
	v_add_u32_e32 v21, v33, v21                                // 0000000047BC: 682A2B21
	s_mul_i32 s60, s46, 32                                     // 0000000047C0: 923CA02E
	v_add_u32_e32 v21, s60, v21                                // 0000000047C4: 682A2A3C
	v_lshlrev_b32_e32 v21, 2, v21                              // 0000000047C8: 242A2A82
	v_lshlrev_b32_e32 v22, 1, v0                               // 0000000047CC: 242C0081
	s_mul_i32 s60, s46, 0x200                                  // 0000000047D0: 923CFF2E 00000200
	v_add_u32_e32 v22, s60, v22                                // 0000000047D8: 682C2C3C
	v_lshlrev_b32_e32 v22, 2, v22                              // 0000000047DC: 242C2C82
	v_lshrrev_b32_e32 v32, 5, v0                               // 0000000047E0: 20400085
	v_mul_i32_i24_e32 v19, 64, v32                             // 0000000047E4: 0C2640C0
	v_and_b32_e32 v32, 31, v0                                  // 0000000047E8: 2640009F
	v_and_b32_e32 v32, 3, v32                                  // 0000000047EC: 26404083
	v_and_b32_e32 v33, 1, v32                                  // 0000000047F0: 26424081
	v_mul_i32_i24_e32 v33, 4, v33                              // 0000000047F4: 0C424284
	v_add_u32_e32 v19, v33, v19                                // 0000000047F8: 68262721
	v_and_b32_e32 v33, 2, v32                                  // 0000000047FC: 26424082
	v_mul_i32_i24_e32 v33, 0x44, v33                           // 000000004800: 0C4242FF 00000044
	v_add_u32_e32 v19, v33, v19                                // 000000004808: 68262721
	v_and_b32_e32 v32, 31, v0                                  // 00000000480C: 2640009F
	v_lshrrev_b32_e32 v32, 2, v32                              // 000000004810: 20404082
	v_lshrrev_b32_e32 v34, 2, v32                              // 000000004814: 20444082
	v_mul_i32_i24_e32 v33, 16, v34                             // 000000004818: 0C424490
	v_add_u32_e32 v19, v33, v19                                // 00000000481C: 68262721
	v_and_b32_e32 v33, 2, v32                                  // 000000004820: 26424082
	v_lshlrev_b32_e32 v33, 4, v33                              // 000000004824: 24424284
	v_add_u32_e32 v19, v33, v19                                // 000000004828: 68262721
	v_and_b32_e32 v33, 1, v32                                  // 00000000482C: 26424081
	v_xor_b32_e32 v33, v34, v33                                // 000000004830: 2A424322
	v_mul_i32_i24_e32 v33, 8, v33                              // 000000004834: 0C424288
	v_add_u32_e32 v19, v33, v19                                // 000000004838: 68262721
	s_lshr_b32 s60, s46, 1                                     // 00000000483C: 8F3C812E
	s_mul_i32 s60, s60, 0x6c0                                  // 000000004840: 923CFF3C 000006C0
	v_add_u32_e32 v19, s60, v19                                // 000000004848: 6826263C
	v_lshlrev_b32_e32 v19, 2, v19                              // 00000000484C: 24262682
	v_lshrrev_b32_e32 v32, 5, v0                               // 000000004850: 20400085
	v_mul_i32_i24_e32 v20, 32, v32                             // 000000004854: 0C2840A0
	v_and_b32_e32 v32, 31, v0                                  // 000000004858: 2640009F
	v_and_b32_e32 v32, 3, v32                                  // 00000000485C: 26404083
	v_and_b32_e32 v33, 1, v32                                  // 000000004860: 26424081
	v_mul_i32_i24_e32 v33, 4, v33                              // 000000004864: 0C424284
	v_add_u32_e32 v20, v33, v20                                // 000000004868: 68282921
	v_and_b32_e32 v33, 2, v32                                  // 00000000486C: 26424082
	v_lshrrev_b32_e32 v33, 1, v33                              // 000000004870: 20424281
	v_add_u32_e32 v20, v33, v20                                // 000000004874: 68282921
	v_and_b32_e32 v32, 31, v0                                  // 000000004878: 2640009F
	v_lshrrev_b32_e32 v32, 2, v32                              // 00000000487C: 20404082
	v_and_b32_e32 v34, 1, v32                                  // 000000004880: 26444081
	v_mul_i32_i24_e32 v33, 16, v34                             // 000000004884: 0C424490
	v_add_u32_e32 v20, v33, v20                                // 000000004888: 68282921
	v_and_b32_e32 v33, 2, v32                                  // 00000000488C: 26424082
	v_add_u32_e32 v20, v33, v20                                // 000000004890: 68282921
	v_lshrrev_b32_e32 v33, 2, v32                              // 000000004894: 20424082
	v_xor_b32_e32 v33, v34, v33                                // 000000004898: 2A424322
	v_mul_i32_i24_e32 v33, 8, v33                              // 00000000489C: 0C424288
	v_add_u32_e32 v20, v33, v20                                // 0000000048A0: 68282921
	s_and_b32 s60, 1, s46                                      // 0000000048A4: 863C2E81
	s_mul_i32 s60, s60, 64                                     // 0000000048A8: 923CC03C
	s_lshr_b32 s61, s46, 1                                     // 0000000048AC: 8F3D812E
	s_mul_i32 s61, s61, 0x120                                  // 0000000048B0: 923DFF3D 00000120
	s_add_u32 s60, s60, s61                                    // 0000000048B8: 803C3D3C
	v_add_u32_e32 v20, s60, v20                                // 0000000048BC: 6828283C
	v_lshlrev_b32_e32 v20, 2, v20                              // 0000000048C0: 24282882
	buffer_load_dword v180, v1, s[12:15], 0 idxen              // 0000000048C4: E0502000 8003B401
	buffer_load_dword v181, v2, s[12:15], 0 idxen              // 0000000048CC: E0502000 8003B502
	s_mul_i32 s60, 4, s6                                       // 0000000048D4: 923C0684
	s_cmp_lt_i32 0, s72                                        // 0000000048D8: BF044880
	s_cselect_b32 s60, s60, 0                                  // 0000000048DC: 853C803C
	v_add_u32_e32 v1, s60, v1                                  // 0000000048E0: 6802023C
	v_add_u32_e32 v2, s60, v2                                  // 0000000048E4: 6804043C
	buffer_load_dword v182, v1, s[12:15], 0 idxen              // 0000000048E8: E0502000 8003B601
	buffer_load_dword v183, v2, s[12:15], 0 idxen              // 0000000048F0: E0502000 8003B702
	s_mul_i32 s60, 4, s6                                       // 0000000048F8: 923C0684
	s_cmp_lt_i32 0, s72                                        // 0000000048FC: BF044880
	s_cselect_b32 s60, s60, 0                                  // 000000004900: 853C803C
	v_add_u32_e32 v1, s60, v1                                  // 000000004904: 6802023C
	v_add_u32_e32 v2, s60, v2                                  // 000000004908: 6804043C
	buffer_load_dword v184, v1, s[12:15], 0 idxen              // 00000000490C: E0502000 8003B801
	buffer_load_dword v185, v2, s[12:15], 0 idxen              // 000000004914: E0502000 8003B902
	s_mul_i32 s60, 4, s6                                       // 00000000491C: 923C0684
	s_cmp_lt_i32 0, s72                                        // 000000004920: BF044880
	s_cselect_b32 s60, s60, 0                                  // 000000004924: 853C803C
	v_add_u32_e32 v1, s60, v1                                  // 000000004928: 6802023C
	v_add_u32_e32 v2, s60, v2                                  // 00000000492C: 6804043C
	buffer_load_dword v186, v1, s[12:15], 0 idxen              // 000000004930: E0502000 8003BA01
	buffer_load_dword v187, v2, s[12:15], 0 idxen              // 000000004938: E0502000 8003BB02
	s_mul_i32 s60, 4, s6                                       // 000000004940: 923C0684
	s_cmp_lt_i32 1, s72                                        // 000000004944: BF044881
	s_cselect_b32 s60, s60, 0                                  // 000000004948: 853C803C
	v_add_u32_e32 v1, s60, v1                                  // 00000000494C: 6802023C
	v_add_u32_e32 v2, s60, v2                                  // 000000004950: 6804043C
	buffer_load_dword v188, v1, s[12:15], 0 idxen              // 000000004954: E0502000 8003BC01
	buffer_load_dword v189, v2, s[12:15], 0 idxen              // 00000000495C: E0502000 8003BD02
	s_mul_i32 s60, 4, s6                                       // 000000004964: 923C0684
	s_cmp_lt_i32 1, s72                                        // 000000004968: BF044881
	s_cselect_b32 s60, s60, 0                                  // 00000000496C: 853C803C
	v_add_u32_e32 v1, s60, v1                                  // 000000004970: 6802023C
	v_add_u32_e32 v2, s60, v2                                  // 000000004974: 6804043C
	buffer_load_dword v190, v1, s[12:15], 0 idxen              // 000000004978: E0502000 8003BE01
	buffer_load_dword v191, v2, s[12:15], 0 idxen              // 000000004980: E0502000 8003BF02
	s_mul_i32 s60, 4, s6                                       // 000000004988: 923C0684
	s_cmp_lt_i32 1, s72                                        // 00000000498C: BF044881
	s_cselect_b32 s60, s60, 0                                  // 000000004990: 853C803C
	v_add_u32_e32 v1, s60, v1                                  // 000000004994: 6802023C
	v_add_u32_e32 v2, s60, v2                                  // 000000004998: 6804043C
	buffer_load_dword v192, v1, s[12:15], 0 idxen              // 00000000499C: E0502000 8003C001
	buffer_load_dword v193, v2, s[12:15], 0 idxen              // 0000000049A4: E0502000 8003C102
	s_mul_i32 s60, 4, s6                                       // 0000000049AC: 923C0684
	s_cmp_lt_i32 1, s72                                        // 0000000049B0: BF044881
	s_cselect_b32 s60, s60, 0                                  // 0000000049B4: 853C803C
	v_add_u32_e32 v1, s60, v1                                  // 0000000049B8: 6802023C
	v_add_u32_e32 v2, s60, v2                                  // 0000000049BC: 6804043C
	buffer_load_dword v194, v1, s[12:15], 0 idxen              // 0000000049C0: E0502000 8003C201
	buffer_load_dword v195, v2, s[12:15], 0 idxen              // 0000000049C8: E0502000 8003C302
	s_mul_i32 s60, 4, s6                                       // 0000000049D0: 923C0684
	s_cmp_lt_i32 2, s72                                        // 0000000049D4: BF044882
	s_cselect_b32 s60, s60, 0                                  // 0000000049D8: 853C803C
	v_add_u32_e32 v1, s60, v1                                  // 0000000049DC: 6802023C
	v_add_u32_e32 v2, s60, v2                                  // 0000000049E0: 6804043C
	buffer_load_dword v196, v1, s[12:15], 0 idxen              // 0000000049E4: E0502000 8003C401
	buffer_load_dword v197, v2, s[12:15], 0 idxen              // 0000000049EC: E0502000 8003C502
	s_mul_i32 s60, 4, s6                                       // 0000000049F4: 923C0684
	s_cmp_lt_i32 2, s72                                        // 0000000049F8: BF044882
	s_cselect_b32 s60, s60, 0                                  // 0000000049FC: 853C803C
	v_add_u32_e32 v1, s60, v1                                  // 000000004A00: 6802023C
	v_add_u32_e32 v2, s60, v2                                  // 000000004A04: 6804043C
	buffer_load_dword v198, v1, s[12:15], 0 idxen              // 000000004A08: E0502000 8003C601
	buffer_load_dword v199, v2, s[12:15], 0 idxen              // 000000004A10: E0502000 8003C702
	s_mul_i32 s60, 4, s6                                       // 000000004A18: 923C0684
	s_cmp_lt_i32 2, s72                                        // 000000004A1C: BF044882
	s_cselect_b32 s60, s60, 0                                  // 000000004A20: 853C803C
	v_add_u32_e32 v1, s60, v1                                  // 000000004A24: 6802023C
	v_add_u32_e32 v2, s60, v2                                  // 000000004A28: 6804043C
	buffer_load_dword v200, v1, s[12:15], 0 idxen              // 000000004A2C: E0502000 8003C801
	buffer_load_dword v201, v2, s[12:15], 0 idxen              // 000000004A34: E0502000 8003C902
	s_mul_i32 s60, 4, s6                                       // 000000004A3C: 923C0684
	s_cmp_lt_i32 2, s72                                        // 000000004A40: BF044882
	s_cselect_b32 s60, s60, 0                                  // 000000004A44: 853C803C
	v_add_u32_e32 v1, s60, v1                                  // 000000004A48: 6802023C
	v_add_u32_e32 v2, s60, v2                                  // 000000004A4C: 6804043C
	buffer_load_dword v202, v1, s[12:15], 0 idxen              // 000000004A50: E0502000 8003CA01
	buffer_load_dword v203, v2, s[12:15], 0 idxen              // 000000004A58: E0502000 8003CB02
	s_mul_i32 s60, 4, s6                                       // 000000004A60: 923C0684
	s_cmp_lt_i32 3, s72                                        // 000000004A64: BF044883
	s_cselect_b32 s60, s60, 0                                  // 000000004A68: 853C803C
	v_add_u32_e32 v1, s60, v1                                  // 000000004A6C: 6802023C
	v_add_u32_e32 v2, s60, v2                                  // 000000004A70: 6804043C
	s_waitcnt vmcnt(16) lgkmcnt(0)                             // 000000004A74: BF8C4070
	s_barrier                                                  // 000000004A78: BF8A0000
	s_cmp_lt_i32 0, s72                                        // 000000004A7C: BF044880
	s_cbranch_scc1 label_0329                                  // 000000004A80: BF850008
	v_mov_b32_e32 v180, 0                                      // 000000004A84: 7F680280
	v_mov_b32_e32 v181, 0                                      // 000000004A88: 7F6A0280
	v_mov_b32_e32 v182, 0                                      // 000000004A8C: 7F6C0280
	v_mov_b32_e32 v183, 0                                      // 000000004A90: 7F6E0280
	v_mov_b32_e32 v184, 0                                      // 000000004A94: 7F700280
	v_mov_b32_e32 v185, 0                                      // 000000004A98: 7F720280
	v_mov_b32_e32 v186, 0                                      // 000000004A9C: 7F740280
	v_mov_b32_e32 v187, 0                                      // 000000004AA0: 7F760280

0000000000004aa4 <label_0329>:
	v_perm_b32 v204, v181, v180, s63                           // 000000004AA4: D1ED00CC 00FF69B5
	v_perm_b32 v205, v181, v180, s64                           // 000000004AAC: D1ED00CD 010369B5
	v_perm_b32 v206, v183, v182, s63                           // 000000004AB4: D1ED00CE 00FF6DB7
	v_perm_b32 v207, v183, v182, s64                           // 000000004ABC: D1ED00CF 01036DB7
	v_perm_b32 v208, v185, v184, s63                           // 000000004AC4: D1ED00D0 00FF71B9
	v_perm_b32 v209, v185, v184, s64                           // 000000004ACC: D1ED00D1 010371B9
	v_perm_b32 v210, v187, v186, s63                           // 000000004AD4: D1ED00D2 00FF75BB
	v_perm_b32 v211, v187, v186, s64                           // 000000004ADC: D1ED00D3 010375BB
	ds_write_b32 v15, v204 offset:8704                         // 000000004AE4: D81A2200 0000CC0F
	ds_write_b32 v15, v205 offset:9760                         // 000000004AEC: D81A2620 0000CD0F
	ds_write_b32 v15, v206 offset:10880                        // 000000004AF4: D81A2A80 0000CE0F
	ds_write_b32 v15, v207 offset:11936                        // 000000004AFC: D81A2EA0 0000CF0F
	ds_write_b32 v15, v208 offset:13056                        // 000000004B04: D81A3300 0000D00F
	ds_write_b32 v15, v209 offset:14112                        // 000000004B0C: D81A3720 0000D10F
	ds_write_b32 v15, v210 offset:15232                        // 000000004B14: D81A3B80 0000D20F
	ds_write_b32 v15, v211 offset:16288                        // 000000004B1C: D81A3FA0 0000D30F
	ds_write_b32 v13, v180                                     // 000000004B24: D81A0000 0000B40D
	ds_write_b32 v13, v181 offset:1056                         // 000000004B2C: D81A0420 0000B50D
	ds_write_b32 v13, v182 offset:2176                         // 000000004B34: D81A0880 0000B60D
	ds_write_b32 v13, v183 offset:3232                         // 000000004B3C: D81A0CA0 0000B70D
	ds_write_b32 v13, v184 offset:4352                         // 000000004B44: D81A1100 0000B80D
	ds_write_b32 v13, v185 offset:5408                         // 000000004B4C: D81A1520 0000B90D
	ds_write_b32 v13, v186 offset:6528                         // 000000004B54: D81A1980 0000BA0D
	ds_write_b32 v13, v187 offset:7584                         // 000000004B5C: D81A1DA0 0000BB0D
	buffer_load_dword v180, v228, s[16:19], 0 idxen            // 000000004B64: E0502000 8004B4E4
	buffer_load_dword v181, v229, s[16:19], 0 idxen            // 000000004B6C: E0502000 8004B5E5
	s_mul_i32 s60, 4, s7                                       // 000000004B74: 923C0784
	s_cmp_lt_i32 0, s72                                        // 000000004B78: BF044880
	s_cselect_b32 s60, s60, 0                                  // 000000004B7C: 853C803C
	v_add_u32_e32 v228, s60, v228                              // 000000004B80: 69C9C83C
	v_add_u32_e32 v229, s60, v229                              // 000000004B84: 69CBCA3C
	buffer_load_dword v182, v228, s[16:19], 0 idxen            // 000000004B88: E0502000 8004B6E4
	buffer_load_dword v183, v229, s[16:19], 0 idxen            // 000000004B90: E0502000 8004B7E5
	s_mul_i32 s60, 4, s7                                       // 000000004B98: 923C0784
	s_cmp_lt_i32 0, s72                                        // 000000004B9C: BF044880
	s_cselect_b32 s60, s60, 0                                  // 000000004BA0: 853C803C
	v_add_u32_e32 v228, s60, v228                              // 000000004BA4: 69C9C83C
	v_add_u32_e32 v229, s60, v229                              // 000000004BA8: 69CBCA3C
	buffer_load_dword v184, v228, s[16:19], 0 idxen            // 000000004BAC: E0502000 8004B8E4
	buffer_load_dword v185, v229, s[16:19], 0 idxen            // 000000004BB4: E0502000 8004B9E5
	s_mul_i32 s60, 4, s7                                       // 000000004BBC: 923C0784
	s_cmp_lt_i32 0, s72                                        // 000000004BC0: BF044880
	s_cselect_b32 s60, s60, 0                                  // 000000004BC4: 853C803C
	v_add_u32_e32 v228, s60, v228                              // 000000004BC8: 69C9C83C
	v_add_u32_e32 v229, s60, v229                              // 000000004BCC: 69CBCA3C
	buffer_load_dword v186, v228, s[16:19], 0 idxen            // 000000004BD0: E0502000 8004BAE4
	buffer_load_dword v187, v229, s[16:19], 0 idxen            // 000000004BD8: E0502000 8004BBE5
	s_mul_i32 s60, 4, s7                                       // 000000004BE0: 923C0784
	s_cmp_lt_i32 1, s72                                        // 000000004BE4: BF044881
	s_cselect_b32 s60, s60, 0                                  // 000000004BE8: 853C803C
	v_add_u32_e32 v228, s60, v228                              // 000000004BEC: 69C9C83C
	v_add_u32_e32 v229, s60, v229                              // 000000004BF0: 69CBCA3C
	s_waitcnt lgkmcnt(0)                                       // 000000004BF4: BF8CC07F
	s_barrier                                                  // 000000004BF8: BF8A0000
	ds_read_b128 a[24:27], v25 offset:8704                     // 000000004BFC: DBFE2200 18000019
	ds_read_b128 a[28:31], v25 offset:8960                     // 000000004C04: DBFE2300 1C000019
	ds_read_b128 a[32:35], v25 offset:13056                    // 000000004C0C: DBFE3300 20000019
	ds_read_b128 a[36:39], v25 offset:13312                    // 000000004C14: DBFE3400 24000019
	ds_read_b128 a[0:3], v24                                   // 000000004C1C: DBFE0000 00000018
	ds_read_b128 a[4:7], v24 offset:512                        // 000000004C24: DBFE0200 04000018
	s_waitcnt vmcnt(16) lgkmcnt(0)                             // 000000004C2C: BF8C4070
	s_barrier                                                  // 000000004C30: BF8A0000
	s_cmp_lt_i32 1, s72                                        // 000000004C34: BF044881
	s_cbranch_scc1 label_0397                                  // 000000004C38: BF850008
	v_mov_b32_e32 v188, 0                                      // 000000004C3C: 7F780280
	v_mov_b32_e32 v189, 0                                      // 000000004C40: 7F7A0280
	v_mov_b32_e32 v190, 0                                      // 000000004C44: 7F7C0280
	v_mov_b32_e32 v191, 0                                      // 000000004C48: 7F7E0280
	v_mov_b32_e32 v192, 0                                      // 000000004C4C: 7F800280
	v_mov_b32_e32 v193, 0                                      // 000000004C50: 7F820280
	v_mov_b32_e32 v194, 0                                      // 000000004C54: 7F840280
	v_mov_b32_e32 v195, 0                                      // 000000004C58: 7F860280

0000000000004c5c <label_0397>:
	v_perm_b32 v204, v189, v188, s63                           // 000000004C5C: D1ED00CC 00FF79BD
	v_perm_b32 v205, v189, v188, s64                           // 000000004C64: D1ED00CD 010379BD
	v_perm_b32 v206, v191, v190, s63                           // 000000004C6C: D1ED00CE 00FF7DBF
	v_perm_b32 v207, v191, v190, s64                           // 000000004C74: D1ED00CF 01037DBF
	v_perm_b32 v208, v193, v192, s63                           // 000000004C7C: D1ED00D0 00FF81C1
	v_perm_b32 v209, v193, v192, s64                           // 000000004C84: D1ED00D1 010381C1
	v_perm_b32 v210, v195, v194, s63                           // 000000004C8C: D1ED00D2 00FF85C3
	v_perm_b32 v211, v195, v194, s64                           // 000000004C94: D1ED00D3 010385C3
	ds_write_b32 v15, v204 offset:8704                         // 000000004C9C: D81A2200 0000CC0F
	ds_write_b32 v15, v205 offset:9760                         // 000000004CA4: D81A2620 0000CD0F
	ds_write_b32 v15, v206 offset:10880                        // 000000004CAC: D81A2A80 0000CE0F
	ds_write_b32 v15, v207 offset:11936                        // 000000004CB4: D81A2EA0 0000CF0F
	ds_write_b32 v15, v208 offset:13056                        // 000000004CBC: D81A3300 0000D00F
	ds_write_b32 v15, v209 offset:14112                        // 000000004CC4: D81A3720 0000D10F
	ds_write_b32 v15, v210 offset:15232                        // 000000004CCC: D81A3B80 0000D20F
	ds_write_b32 v15, v211 offset:16288                        // 000000004CD4: D81A3FA0 0000D30F
	ds_write_b32 v13, v188                                     // 000000004CDC: D81A0000 0000BC0D
	ds_write_b32 v13, v189 offset:1056                         // 000000004CE4: D81A0420 0000BD0D
	ds_write_b32 v13, v190 offset:2176                         // 000000004CEC: D81A0880 0000BE0D
	ds_write_b32 v13, v191 offset:3232                         // 000000004CF4: D81A0CA0 0000BF0D
	ds_write_b32 v13, v192 offset:4352                         // 000000004CFC: D81A1100 0000C00D
	ds_write_b32 v13, v193 offset:5408                         // 000000004D04: D81A1520 0000C10D
	ds_write_b32 v13, v194 offset:6528                         // 000000004D0C: D81A1980 0000C20D
	ds_write_b32 v13, v195 offset:7584                         // 000000004D14: D81A1DA0 0000C30D
	buffer_load_dword v188, v228, s[16:19], 0 idxen            // 000000004D1C: E0502000 8004BCE4
	buffer_load_dword v189, v229, s[16:19], 0 idxen            // 000000004D24: E0502000 8004BDE5
	s_mul_i32 s60, 4, s7                                       // 000000004D2C: 923C0784
	s_cmp_lt_i32 1, s72                                        // 000000004D30: BF044881
	s_cselect_b32 s60, s60, 0                                  // 000000004D34: 853C803C
	v_add_u32_e32 v228, s60, v228                              // 000000004D38: 69C9C83C
	v_add_u32_e32 v229, s60, v229                              // 000000004D3C: 69CBCA3C
	buffer_load_dword v190, v228, s[16:19], 0 idxen            // 000000004D40: E0502000 8004BEE4
	buffer_load_dword v191, v229, s[16:19], 0 idxen            // 000000004D48: E0502000 8004BFE5
	s_mul_i32 s60, 4, s7                                       // 000000004D50: 923C0784
	s_cmp_lt_i32 1, s72                                        // 000000004D54: BF044881
	s_cselect_b32 s60, s60, 0                                  // 000000004D58: 853C803C
	v_add_u32_e32 v228, s60, v228                              // 000000004D5C: 69C9C83C
	v_add_u32_e32 v229, s60, v229                              // 000000004D60: 69CBCA3C
	buffer_load_dword v192, v228, s[16:19], 0 idxen            // 000000004D64: E0502000 8004C0E4
	buffer_load_dword v193, v229, s[16:19], 0 idxen            // 000000004D6C: E0502000 8004C1E5
	s_mul_i32 s60, 4, s7                                       // 000000004D74: 923C0784
	s_cmp_lt_i32 1, s72                                        // 000000004D78: BF044881
	s_cselect_b32 s60, s60, 0                                  // 000000004D7C: 853C803C
	v_add_u32_e32 v228, s60, v228                              // 000000004D80: 69C9C83C
	v_add_u32_e32 v229, s60, v229                              // 000000004D84: 69CBCA3C
	buffer_load_dword v194, v228, s[16:19], 0 idxen            // 000000004D88: E0502000 8004C2E4
	buffer_load_dword v195, v229, s[16:19], 0 idxen            // 000000004D90: E0502000 8004C3E5
	s_mul_i32 s60, 4, s7                                       // 000000004D98: 923C0784
	s_cmp_lt_i32 2, s72                                        // 000000004D9C: BF044882
	s_cselect_b32 s60, s60, 0                                  // 000000004DA0: 853C803C
	v_add_u32_e32 v228, s60, v228                              // 000000004DA4: 69C9C83C
	v_add_u32_e32 v229, s60, v229                              // 000000004DA8: 69CBCA3C
	s_waitcnt lgkmcnt(0)                                       // 000000004DAC: BF8CC07F
	s_barrier                                                  // 000000004DB0: BF8A0000
	ds_read_b128 a[40:43], v25 offset:8704                     // 000000004DB4: DBFE2200 28000019
	ds_read_b128 a[44:47], v25 offset:8960                     // 000000004DBC: DBFE2300 2C000019
	ds_read_b128 a[48:51], v25 offset:13056                    // 000000004DC4: DBFE3300 30000019
	ds_read_b128 a[52:55], v25 offset:13312                    // 000000004DCC: DBFE3400 34000019
	ds_read_b128 a[8:11], v24                                  // 000000004DD4: DBFE0000 08000018
	ds_read_b128 a[12:15], v24 offset:512                      // 000000004DDC: DBFE0200 0C000018
	s_waitcnt vmcnt(16) lgkmcnt(0)                             // 000000004DE4: BF8C4070
	s_barrier                                                  // 000000004DE8: BF8A0000
	s_cmp_lt_i32 2, s72                                        // 000000004DEC: BF044882
	s_cbranch_scc1 label_0405                                  // 000000004DF0: BF850008
	v_mov_b32_e32 v196, 0                                      // 000000004DF4: 7F880280
	v_mov_b32_e32 v197, 0                                      // 000000004DF8: 7F8A0280
	v_mov_b32_e32 v198, 0                                      // 000000004DFC: 7F8C0280
	v_mov_b32_e32 v199, 0                                      // 000000004E00: 7F8E0280
	v_mov_b32_e32 v200, 0                                      // 000000004E04: 7F900280
	v_mov_b32_e32 v201, 0                                      // 000000004E08: 7F920280
	v_mov_b32_e32 v202, 0                                      // 000000004E0C: 7F940280
	v_mov_b32_e32 v203, 0                                      // 000000004E10: 7F960280

0000000000004e14 <label_0405>:
	v_perm_b32 v204, v197, v196, s63                           // 000000004E14: D1ED00CC 00FF89C5
	v_perm_b32 v205, v197, v196, s64                           // 000000004E1C: D1ED00CD 010389C5
	v_perm_b32 v206, v199, v198, s63                           // 000000004E24: D1ED00CE 00FF8DC7
	v_perm_b32 v207, v199, v198, s64                           // 000000004E2C: D1ED00CF 01038DC7
	v_perm_b32 v208, v201, v200, s63                           // 000000004E34: D1ED00D0 00FF91C9
	v_perm_b32 v209, v201, v200, s64                           // 000000004E3C: D1ED00D1 010391C9
	v_perm_b32 v210, v203, v202, s63                           // 000000004E44: D1ED00D2 00FF95CB
	v_perm_b32 v211, v203, v202, s64                           // 000000004E4C: D1ED00D3 010395CB
	ds_write_b32 v15, v204 offset:8704                         // 000000004E54: D81A2200 0000CC0F
	ds_write_b32 v15, v205 offset:9760                         // 000000004E5C: D81A2620 0000CD0F
	ds_write_b32 v15, v206 offset:10880                        // 000000004E64: D81A2A80 0000CE0F
	ds_write_b32 v15, v207 offset:11936                        // 000000004E6C: D81A2EA0 0000CF0F
	ds_write_b32 v15, v208 offset:13056                        // 000000004E74: D81A3300 0000D00F
	ds_write_b32 v15, v209 offset:14112                        // 000000004E7C: D81A3720 0000D10F
	ds_write_b32 v15, v210 offset:15232                        // 000000004E84: D81A3B80 0000D20F
	ds_write_b32 v15, v211 offset:16288                        // 000000004E8C: D81A3FA0 0000D30F
	ds_write_b32 v13, v196                                     // 000000004E94: D81A0000 0000C40D
	ds_write_b32 v13, v197 offset:1056                         // 000000004E9C: D81A0420 0000C50D
	ds_write_b32 v13, v198 offset:2176                         // 000000004EA4: D81A0880 0000C60D
	ds_write_b32 v13, v199 offset:3232                         // 000000004EAC: D81A0CA0 0000C70D
	ds_write_b32 v13, v200 offset:4352                         // 000000004EB4: D81A1100 0000C80D
	ds_write_b32 v13, v201 offset:5408                         // 000000004EBC: D81A1520 0000C90D
	ds_write_b32 v13, v202 offset:6528                         // 000000004EC4: D81A1980 0000CA0D
	ds_write_b32 v13, v203 offset:7584                         // 000000004ECC: D81A1DA0 0000CB0D
	buffer_load_dword v196, v228, s[16:19], 0 idxen            // 000000004ED4: E0502000 8004C4E4
	buffer_load_dword v197, v229, s[16:19], 0 idxen            // 000000004EDC: E0502000 8004C5E5
	s_mul_i32 s60, 4, s7                                       // 000000004EE4: 923C0784
	s_cmp_lt_i32 2, s72                                        // 000000004EE8: BF044882
	s_cselect_b32 s60, s60, 0                                  // 000000004EEC: 853C803C
	v_add_u32_e32 v228, s60, v228                              // 000000004EF0: 69C9C83C
	v_add_u32_e32 v229, s60, v229                              // 000000004EF4: 69CBCA3C
	buffer_load_dword v198, v228, s[16:19], 0 idxen            // 000000004EF8: E0502000 8004C6E4
	buffer_load_dword v199, v229, s[16:19], 0 idxen            // 000000004F00: E0502000 8004C7E5
	s_mul_i32 s60, 4, s7                                       // 000000004F08: 923C0784
	s_cmp_lt_i32 2, s72                                        // 000000004F0C: BF044882
	s_cselect_b32 s60, s60, 0                                  // 000000004F10: 853C803C
	v_add_u32_e32 v228, s60, v228                              // 000000004F14: 69C9C83C
	v_add_u32_e32 v229, s60, v229                              // 000000004F18: 69CBCA3C
	buffer_load_dword v200, v228, s[16:19], 0 idxen            // 000000004F1C: E0502000 8004C8E4
	buffer_load_dword v201, v229, s[16:19], 0 idxen            // 000000004F24: E0502000 8004C9E5
	s_mul_i32 s60, 4, s7                                       // 000000004F2C: 923C0784
	s_cmp_lt_i32 2, s72                                        // 000000004F30: BF044882
	s_cselect_b32 s60, s60, 0                                  // 000000004F34: 853C803C
	v_add_u32_e32 v228, s60, v228                              // 000000004F38: 69C9C83C
	v_add_u32_e32 v229, s60, v229                              // 000000004F3C: 69CBCA3C
	buffer_load_dword v202, v228, s[16:19], 0 idxen            // 000000004F40: E0502000 8004CAE4
	buffer_load_dword v203, v229, s[16:19], 0 idxen            // 000000004F48: E0502000 8004CBE5
	s_mul_i32 s60, 4, s7                                       // 000000004F50: 923C0784
	s_cmp_lt_i32 3, s72                                        // 000000004F54: BF044883
	s_cselect_b32 s60, s60, 0                                  // 000000004F58: 853C803C
	v_add_u32_e32 v228, s60, v228                              // 000000004F5C: 69C9C83C
	v_add_u32_e32 v229, s60, v229                              // 000000004F60: 69CBCA3C
	s_waitcnt lgkmcnt(0)                                       // 000000004F64: BF8CC07F
	s_barrier                                                  // 000000004F68: BF8A0000
	ds_read_b128 a[56:59], v25 offset:8704                     // 000000004F6C: DBFE2200 38000019
	ds_read_b128 a[60:63], v25 offset:8960                     // 000000004F74: DBFE2300 3C000019
	ds_read_b128 a[64:67], v25 offset:13056                    // 000000004F7C: DBFE3300 40000019
	ds_read_b128 a[68:71], v25 offset:13312                    // 000000004F84: DBFE3400 44000019
	ds_read_b128 a[16:19], v24                                 // 000000004F8C: DBFE0000 10000018
	ds_read_b128 a[20:23], v24 offset:512                      // 000000004F94: DBFE0200 14000018
	s_waitcnt vmcnt(16) lgkmcnt(0)                             // 000000004F9C: BF8C4070
	s_barrier                                                  // 000000004FA0: BF8A0000
	s_cmp_lt_i32 0, s72                                        // 000000004FA4: BF044880
	s_cbranch_scc1 label_0473                                  // 000000004FA8: BF850008
	v_mov_b32_e32 v180, 0                                      // 000000004FAC: 7F680280
	v_mov_b32_e32 v181, 0                                      // 000000004FB0: 7F6A0280
	v_mov_b32_e32 v182, 0                                      // 000000004FB4: 7F6C0280
	v_mov_b32_e32 v183, 0                                      // 000000004FB8: 7F6E0280
	v_mov_b32_e32 v184, 0                                      // 000000004FBC: 7F700280
	v_mov_b32_e32 v185, 0                                      // 000000004FC0: 7F720280
	v_mov_b32_e32 v186, 0                                      // 000000004FC4: 7F740280
	v_mov_b32_e32 v187, 0                                      // 000000004FC8: 7F760280

0000000000004fcc <label_0473>:
	ds_write_b32 v13, v180                                     // 000000004FCC: D81A0000 0000B40D
	ds_write_b32 v13, v181 offset:1056                         // 000000004FD4: D81A0420 0000B50D
	ds_write_b32 v13, v182 offset:2176                         // 000000004FDC: D81A0880 0000B60D
	ds_write_b32 v13, v183 offset:3232                         // 000000004FE4: D81A0CA0 0000B70D
	ds_write_b32 v13, v184 offset:4352                         // 000000004FEC: D81A1100 0000B80D
	ds_write_b32 v13, v185 offset:5408                         // 000000004FF4: D81A1520 0000B90D
	ds_write_b32 v13, v186 offset:6528                         // 000000004FFC: D81A1980 0000BA0D
	ds_write_b32 v13, v187 offset:7584                         // 000000005004: D81A1DA0 0000BB0D
	s_mov_b32 s71, s5                                          // 00000000500C: BEC70005
	v_lshrrev_b32_e32 v32, 4, v0                               // 000000005010: 20400084
	v_and_b32_e32 v33, 1, v32                                  // 000000005014: 26424081
	v_lshlrev_b32_e32 v33, 1, v33                              // 000000005018: 24424281
	v_mul_i32_i24_e32 v33, s71, v33                            // 00000000501C: 0C424247
	v_and_b32_e32 v34, 2, v32                                  // 000000005020: 26444082
	v_lshlrev_b32_e32 v34, 5, v34                              // 000000005024: 24444485
	v_add_u32_e32 v33, v34, v33                                // 000000005028: 68424322
	v_and_b32_e32 v32, 15, v0                                  // 00000000502C: 2640008F
	v_lshlrev_b32_e32 v32, 2, v32                              // 000000005030: 24404082
	v_add_u32_e32 v1, v32, v33                                 // 000000005034: 68024320
	s_mul_i32 s60, s46, s71                                    // 000000005038: 923C472E
	s_mul_i32 s60, s60, 4                                      // 00000000503C: 923C843C
	v_add_u32_e32 v1, s60, v1                                  // 000000005040: 6802023C
	v_add_u32_e32 v2, s71, v1                                  // 000000005044: 68040247
	s_mul_i32 s60, 16, s71                                     // 000000005048: 923C4790
	v_add_u32_e32 v3, s60, v1                                  // 00000000504C: 6806023C
	v_add_u32_e32 v4, s60, v2                                  // 000000005050: 6808043C
	s_mov_b32 s71, s51                                         // 000000005054: BEC70033
	v_lshrrev_b32_e32 v32, 4, v0                               // 000000005058: 20400084
	v_and_b32_e32 v33, 1, v32                                  // 00000000505C: 26424081
	v_lshlrev_b32_e32 v33, 1, v33                              // 000000005060: 24424281
	v_mul_i32_i24_e32 v33, s71, v33                            // 000000005064: 0C424247
	v_and_b32_e32 v34, 2, v32                                  // 000000005068: 26444082
	v_lshlrev_b32_e32 v34, 5, v34                              // 00000000506C: 24444485
	v_add_u32_e32 v33, v34, v33                                // 000000005070: 68424322
	v_and_b32_e32 v32, 15, v0                                  // 000000005074: 2640008F
	v_lshlrev_b32_e32 v32, 2, v32                              // 000000005078: 24404082
	v_add_u32_e32 v228, v32, v33                               // 00000000507C: 69C84320
	s_mul_i32 s60, s46, s71                                    // 000000005080: 923C472E
	s_mul_i32 s60, s60, 4                                      // 000000005084: 923C843C
	v_add_u32_e32 v228, s60, v228                              // 000000005088: 69C9C83C
	v_add_u32_e32 v229, s71, v228                              // 00000000508C: 69CBC847
	s_mul_i32 s60, 16, s71                                     // 000000005090: 923C4790
	v_add_u32_e32 v230, s60, v228                              // 000000005094: 69CDC83C
	v_add_u32_e32 v231, s60, v229                              // 000000005098: 69CFCA3C
	v_lshrrev_b32_e32 v1, 2, v1                                // 00000000509C: 20020282
	v_lshrrev_b32_e32 v2, 2, v2                                // 0000000050A0: 20040482
	v_lshrrev_b32_e32 v3, 2, v3                                // 0000000050A4: 20060682
	v_lshrrev_b32_e32 v4, 2, v4                                // 0000000050A8: 20080882
	v_lshrrev_b32_e32 v228, 2, v228                            // 0000000050AC: 21C9C882
	v_lshrrev_b32_e32 v229, 2, v229                            // 0000000050B0: 21CBCA82
	v_lshrrev_b32_e32 v230, 2, v230                            // 0000000050B4: 21CDCC82
	v_lshrrev_b32_e32 v231, 2, v231                            // 0000000050B8: 21CFCE82
	buffer_load_dword v36, v1, s[8:11], 0 idxen                // 0000000050BC: E0502000 80022401
	buffer_load_dword v37, v2, s[8:11], 0 idxen                // 0000000050C4: E0502000 80022502
	buffer_load_dword v38, v3, s[8:11], 0 idxen                // 0000000050CC: E0502000 80022603
	buffer_load_dword v39, v4, s[8:11], 0 idxen                // 0000000050D4: E0502000 80022704
	buffer_load_dword v44, v228, s[20:23], 0 idxen             // 0000000050DC: E0502000 80052CE4
	buffer_load_dword v45, v229, s[20:23], 0 idxen             // 0000000050E4: E0502000 80052DE5
	buffer_load_dword v46, v230, s[20:23], 0 idxen             // 0000000050EC: E0502000 80052EE6
	buffer_load_dword v47, v231, s[20:23], 0 idxen             // 0000000050F4: E0502000 80052FE7
	s_waitcnt lgkmcnt(0)                                       // 0000000050FC: BF8CC07F
	s_barrier                                                  // 000000005100: BF8A0000
	ds_read_b128 a[72:75], v24                                 // 000000005104: DBFE0000 48000018
	ds_read_b128 a[76:79], v24 offset:512                      // 00000000510C: DBFE0200 4C000018
	v_add_u32_e32 v1, s68, v1                                  // 000000005114: 68020244
	v_add_u32_e32 v2, s68, v2                                  // 000000005118: 68040444
	v_add_u32_e32 v3, s68, v3                                  // 00000000511C: 68060644
	v_add_u32_e32 v4, s68, v4                                  // 000000005120: 68080844
	v_add_u32_e32 v228, s100, v228                             // 000000005124: 69C9C864
	v_add_u32_e32 v229, s100, v229                             // 000000005128: 69CBCA64
	v_add_u32_e32 v230, s100, v230                             // 00000000512C: 69CDCC64
	v_add_u32_e32 v231, s100, v231                             // 000000005130: 69CFCE64
	s_waitcnt vmcnt(16) lgkmcnt(0)                             // 000000005134: BF8C4070
	s_barrier                                                  // 000000005138: BF8A0000
	s_cmp_lt_i32 1, s72                                        // 00000000513C: BF044881
	s_cbranch_scc1 label_04D9                                  // 000000005140: BF850008
	v_mov_b32_e32 v188, 0                                      // 000000005144: 7F780280
	v_mov_b32_e32 v189, 0                                      // 000000005148: 7F7A0280
	v_mov_b32_e32 v190, 0                                      // 00000000514C: 7F7C0280
	v_mov_b32_e32 v191, 0                                      // 000000005150: 7F7E0280
	v_mov_b32_e32 v192, 0                                      // 000000005154: 7F800280
	v_mov_b32_e32 v193, 0                                      // 000000005158: 7F820280
	v_mov_b32_e32 v194, 0                                      // 00000000515C: 7F840280
	v_mov_b32_e32 v195, 0                                      // 000000005160: 7F860280

0000000000005164 <label_04D9>:
	ds_write_b32 v13, v188                                     // 000000005164: D81A0000 0000BC0D
	ds_write_b32 v13, v189 offset:1056                         // 00000000516C: D81A0420 0000BD0D
	ds_write_b32 v13, v190 offset:2176                         // 000000005174: D81A0880 0000BE0D
	ds_write_b32 v13, v191 offset:3232                         // 00000000517C: D81A0CA0 0000BF0D
	ds_write_b32 v13, v192 offset:4352                         // 000000005184: D81A1100 0000C00D
	ds_write_b32 v13, v193 offset:5408                         // 00000000518C: D81A1520 0000C10D
	ds_write_b32 v13, v194 offset:6528                         // 000000005194: D81A1980 0000C20D
	ds_write_b32 v13, v195 offset:7584                         // 00000000519C: D81A1DA0 0000C30D
	buffer_load_dword v40, v1, s[8:11], 0 idxen                // 0000000051A4: E0502000 80022801
	buffer_load_dword v41, v2, s[8:11], 0 idxen                // 0000000051AC: E0502000 80022902
	buffer_load_dword v42, v3, s[8:11], 0 idxen                // 0000000051B4: E0502000 80022A03
	buffer_load_dword v43, v4, s[8:11], 0 idxen                // 0000000051BC: E0502000 80022B04
	buffer_load_dword v48, v228, s[20:23], 0 idxen             // 0000000051C4: E0502000 800530E4
	buffer_load_dword v49, v229, s[20:23], 0 idxen             // 0000000051CC: E0502000 800531E5
	buffer_load_dword v50, v230, s[20:23], 0 idxen             // 0000000051D4: E0502000 800532E6
	buffer_load_dword v51, v231, s[20:23], 0 idxen             // 0000000051DC: E0502000 800533E7
	s_waitcnt lgkmcnt(0)                                       // 0000000051E4: BF8CC07F
	s_barrier                                                  // 0000000051E8: BF8A0000
	ds_read_b128 a[80:83], v24                                 // 0000000051EC: DBFE0000 50000018
	ds_read_b128 a[84:87], v24 offset:512                      // 0000000051F4: DBFE0200 54000018
	s_add_u32 s60, 64, s59                                     // 0000000051FC: 803C3BC0
	s_cmp_lt_u32 s60, s58                                      // 000000005200: BF0A3A3C
	s_cselect_b32 s68, s68, 0                                  // 000000005204: 85448044
	s_cselect_b32 s100, s100, 0                                // 000000005208: 85648064
	v_add_u32_e32 v1, s68, v1                                  // 00000000520C: 68020244
	v_add_u32_e32 v2, s68, v2                                  // 000000005210: 68040444
	v_add_u32_e32 v3, s68, v3                                  // 000000005214: 68060644
	;; [unrolled: 1-line block ×3, first 2 shown]
	v_add_u32_e32 v228, s100, v228                             // 00000000521C: 69C9C864
	v_add_u32_e32 v229, s100, v229                             // 000000005220: 69CBCA64
	v_add_u32_e32 v230, s100, v230                             // 000000005224: 69CDCC64
	v_add_u32_e32 v231, s100, v231                             // 000000005228: 69CFCE64
	s_waitcnt vmcnt(16) lgkmcnt(0)                             // 00000000522C: BF8C4070
	s_barrier                                                  // 000000005230: BF8A0000
	s_cmp_lt_i32 2, s72                                        // 000000005234: BF044882
	s_cbranch_scc1 label_0517                                  // 000000005238: BF850008
	v_mov_b32_e32 v196, 0                                      // 00000000523C: 7F880280
	v_mov_b32_e32 v197, 0                                      // 000000005240: 7F8A0280
	v_mov_b32_e32 v198, 0                                      // 000000005244: 7F8C0280
	v_mov_b32_e32 v199, 0                                      // 000000005248: 7F8E0280
	v_mov_b32_e32 v200, 0                                      // 00000000524C: 7F900280
	v_mov_b32_e32 v201, 0                                      // 000000005250: 7F920280
	v_mov_b32_e32 v202, 0                                      // 000000005254: 7F940280
	v_mov_b32_e32 v203, 0                                      // 000000005258: 7F960280

000000000000525c <label_0517>:
	ds_write_b32 v13, v196                                     // 00000000525C: D81A0000 0000C40D
	ds_write_b32 v13, v197 offset:1056                         // 000000005264: D81A0420 0000C50D
	ds_write_b32 v13, v198 offset:2176                         // 00000000526C: D81A0880 0000C60D
	ds_write_b32 v13, v199 offset:3232                         // 000000005274: D81A0CA0 0000C70D
	ds_write_b32 v13, v200 offset:4352                         // 00000000527C: D81A1100 0000C80D
	ds_write_b32 v13, v201 offset:5408                         // 000000005284: D81A1520 0000C90D
	ds_write_b32 v13, v202 offset:6528                         // 00000000528C: D81A1980 0000CA0D
	ds_write_b32 v13, v203 offset:7584                         // 000000005294: D81A1DA0 0000CB0D
	s_waitcnt lgkmcnt(0)                                       // 00000000529C: BF8CC07F
	s_barrier                                                  // 0000000052A0: BF8A0000
	ds_read_b128 a[88:91], v24                                 // 0000000052A4: DBFE0000 58000018
	ds_read_b128 a[92:95], v24 offset:512                      // 0000000052AC: DBFE0200 5C000018
	s_waitcnt vmcnt(8) lgkmcnt(0)                              // 0000000052B4: BF8C0078
	s_barrier                                                  // 0000000052B8: BF8A0000
	buffer_load_dword v11, s[24:27], 0 idxen lds               // 0000000052BC: E0512000 8006000B
	s_mov_b32 m0, s79                                          // 0000000052C4: BEFC004F
	v_add_u32_e32 v11, s69, v11                                // 0000000052C8: 68161645
	v_perm_b32 v100, v37, v36, s63                             // 0000000052CC: D1ED0064 00FE4925
	v_perm_b32 v101, v37, v36, s64                             // 0000000052D4: D1ED0065 01024925
	v_perm_b32 v102, v39, v38, s63                             // 0000000052DC: D1ED0066 00FE4D27
	v_perm_b32 v103, v39, v38, s64                             // 0000000052E4: D1ED0067 01024D27
	ds_write_b32 v15, v100 offset:4352                         // 0000000052EC: D81A1100 0000640F
	ds_write_b32 v15, v101 offset:5408                         // 0000000052F4: D81A1520 0000650F
	ds_write_b32 v15, v102 offset:6528                         // 0000000052FC: D81A1980 0000660F
	ds_write_b32 v15, v103 offset:7584                         // 000000005304: D81A1DA0 0000670F
	ds_write_b32 v13, v36                                      // 00000000530C: D81A0000 0000240D
	ds_write_b32 v13, v37 offset:1056                          // 000000005314: D81A0420 0000250D
	ds_write_b32 v13, v38 offset:2176                          // 00000000531C: D81A0880 0000260D
	ds_write_b32 v13, v39 offset:3232                          // 000000005324: D81A0CA0 0000270D
	buffer_load_dword v11, s[24:27], 0 idxen lds               // 00000000532C: E0512000 8006000B
	s_add_u32 s60, 64, s59                                     // 000000005334: 803C3BC0
	s_cmp_lt_u32 s60, s58                                      // 000000005338: BF0A3A3C
	s_cselect_b32 s69, s69, 0                                  // 00000000533C: 85458045
	s_mov_b32 m0, s78                                          // 000000005340: BEFC004E
	v_add_u32_e32 v11, s69, v11                                // 000000005344: 68161645
	v_perm_b32 v104, v45, v44, s63                             // 000000005348: D1ED0068 00FE592D
	v_perm_b32 v105, v45, v44, s64                             // 000000005350: D1ED0069 0102592D
	v_perm_b32 v106, v47, v46, s63                             // 000000005358: D1ED006A 00FE5D2F
	v_perm_b32 v107, v47, v46, s64                             // 000000005360: D1ED006B 01025D2F
	ds_write_b32 v15, v104 offset:13056                        // 000000005368: D81A3300 0000680F
	ds_write_b32 v15, v105 offset:14112                        // 000000005370: D81A3720 0000690F
	ds_write_b32 v15, v106 offset:15232                        // 000000005378: D81A3B80 00006A0F
	ds_write_b32 v15, v107 offset:16288                        // 000000005380: D81A3FA0 00006B0F
	ds_write_b32 v13, v44 offset:8704                          // 000000005388: D81A2200 00002C0D
	ds_write_b32 v13, v45 offset:9760                          // 000000005390: D81A2620 00002D0D
	ds_write_b32 v13, v46 offset:10880                         // 000000005398: D81A2A80 00002E0D
	ds_write_b32 v13, v47 offset:11936                         // 0000000053A0: D81A2EA0 00002F0D
	s_waitcnt vmcnt(1) lgkmcnt(0)                              // 0000000053A8: BF8C0071
	s_barrier                                                  // 0000000053AC: BF8A0000
	ds_read_b128 a[96:99], v12                                 // 0000000053B0: DBFE0000 6000000C
	ds_read_b128 a[100:103], v12 offset:512                    // 0000000053B8: DBFE0200 6400000C
	ds_read_b128 a[104:107], v12 offset:2176                   // 0000000053C0: DBFE0880 6800000C
	ds_read_b128 a[108:111], v12 offset:2688                   // 0000000053C8: DBFE0A80 6C00000C
	ds_read_b128 v[108:111], v12 offset:8704                   // 0000000053D0: D9FE2200 6C00000C
	ds_read_b128 v[112:115], v12 offset:9216                   // 0000000053D8: D9FE2400 7000000C
	ds_read_b128 v[116:119], v12 offset:10880                  // 0000000053E0: D9FE2A80 7400000C
	ds_read_b128 v[120:123], v12 offset:11392                  // 0000000053E8: D9FE2C80 7800000C
	ds_read_b32 v140, v23 offset:39424                         // 0000000053F0: D86C9A00 8C000017
	ds_read_b32 v144, v23 offset:39488                         // 0000000053F8: D86C9A40 90000017
	ds_read_b32 v176, v23 offset:39680                         // 000000005400: D86C9B00 B0000017
	ds_read_b32 v177, v23 offset:39744                         // 000000005408: D86C9B40 B1000017
	v_accvgpr_write_b32 a112, 0                                // 000000005410: D3D94070 18000080
	v_mov_b32_e32 v180, 0                                      // 000000005418: 7F680280
	v_accvgpr_write_b32 a113, 0                                // 00000000541C: D3D94071 18000080
	v_mov_b32_e32 v181, 0                                      // 000000005424: 7F6A0280
	v_accvgpr_write_b32 a114, 0                                // 000000005428: D3D94072 18000080
	v_mov_b32_e32 v182, 0                                      // 000000005430: 7F6C0280
	v_accvgpr_write_b32 a115, 0                                // 000000005434: D3D94073 18000080
	v_mov_b32_e32 v183, 0                                      // 00000000543C: 7F6E0280
	v_accvgpr_write_b32 a116, 0                                // 000000005440: D3D94074 18000080
	v_mov_b32_e32 v184, 0                                      // 000000005448: 7F700280
	v_accvgpr_write_b32 a117, 0                                // 00000000544C: D3D94075 18000080
	v_mov_b32_e32 v185, 0                                      // 000000005454: 7F720280
	v_accvgpr_write_b32 a118, 0                                // 000000005458: D3D94076 18000080
	v_mov_b32_e32 v186, 0                                      // 000000005460: 7F740280
	v_accvgpr_write_b32 a119, 0                                // 000000005464: D3D94077 18000080
	v_mov_b32_e32 v187, 0                                      // 00000000546C: 7F760280
	v_accvgpr_write_b32 a120, 0                                // 000000005470: D3D94078 18000080
	v_mov_b32_e32 v188, 0                                      // 000000005478: 7F780280
	v_accvgpr_write_b32 a121, 0                                // 00000000547C: D3D94079 18000080
	v_mov_b32_e32 v189, 0                                      // 000000005484: 7F7A0280
	v_accvgpr_write_b32 a122, 0                                // 000000005488: D3D9407A 18000080
	v_mov_b32_e32 v190, 0                                      // 000000005490: 7F7C0280
	v_accvgpr_write_b32 a123, 0                                // 000000005494: D3D9407B 18000080
	v_mov_b32_e32 v191, 0                                      // 00000000549C: 7F7E0280
	v_accvgpr_write_b32 a124, 0                                // 0000000054A0: D3D9407C 18000080
	v_mov_b32_e32 v192, 0                                      // 0000000054A8: 7F800280
	v_accvgpr_write_b32 a125, 0                                // 0000000054AC: D3D9407D 18000080
	v_mov_b32_e32 v193, 0                                      // 0000000054B4: 7F820280
	v_accvgpr_write_b32 a126, 0                                // 0000000054B8: D3D9407E 18000080
	v_mov_b32_e32 v194, 0                                      // 0000000054C0: 7F840280
	v_accvgpr_write_b32 a127, 0                                // 0000000054C4: D3D9407F 18000080
	v_mov_b32_e32 v195, 0                                      // 0000000054CC: 7F860280
	v_accvgpr_write_b32 a128, 0                                // 0000000054D0: D3D94080 18000080
	v_mov_b32_e32 v196, 0                                      // 0000000054D8: 7F880280
	v_accvgpr_write_b32 a129, 0                                // 0000000054DC: D3D94081 18000080
	v_mov_b32_e32 v197, 0                                      // 0000000054E4: 7F8A0280
	v_accvgpr_write_b32 a130, 0                                // 0000000054E8: D3D94082 18000080
	v_mov_b32_e32 v198, 0                                      // 0000000054F0: 7F8C0280
	v_accvgpr_write_b32 a131, 0                                // 0000000054F4: D3D94083 18000080
	v_mov_b32_e32 v199, 0                                      // 0000000054FC: 7F8E0280
	v_accvgpr_write_b32 a132, 0                                // 000000005500: D3D94084 18000080
	v_mov_b32_e32 v200, 0                                      // 000000005508: 7F900280
	v_accvgpr_write_b32 a133, 0                                // 00000000550C: D3D94085 18000080
	v_mov_b32_e32 v201, 0                                      // 000000005514: 7F920280
	v_accvgpr_write_b32 a134, 0                                // 000000005518: D3D94086 18000080
	v_mov_b32_e32 v202, 0                                      // 000000005520: 7F940280
	v_accvgpr_write_b32 a135, 0                                // 000000005524: D3D94087 18000080
	v_mov_b32_e32 v203, 0                                      // 00000000552C: 7F960280
	v_accvgpr_write_b32 a136, 0                                // 000000005530: D3D94088 18000080
	v_mov_b32_e32 v204, 0                                      // 000000005538: 7F980280
	v_accvgpr_write_b32 a137, 0                                // 00000000553C: D3D94089 18000080
	v_mov_b32_e32 v205, 0                                      // 000000005544: 7F9A0280
	v_accvgpr_write_b32 a138, 0                                // 000000005548: D3D9408A 18000080
	v_mov_b32_e32 v206, 0                                      // 000000005550: 7F9C0280
	v_accvgpr_write_b32 a139, 0                                // 000000005554: D3D9408B 18000080
	v_mov_b32_e32 v207, 0                                      // 00000000555C: 7F9E0280
	v_accvgpr_write_b32 a140, 0                                // 000000005560: D3D9408C 18000080
	v_mov_b32_e32 v208, 0                                      // 000000005568: 7FA00280
	v_accvgpr_write_b32 a141, 0                                // 00000000556C: D3D9408D 18000080
	v_mov_b32_e32 v209, 0                                      // 000000005574: 7FA20280
	v_accvgpr_write_b32 a142, 0                                // 000000005578: D3D9408E 18000080
	v_mov_b32_e32 v210, 0                                      // 000000005580: 7FA40280
	v_accvgpr_write_b32 a143, 0                                // 000000005584: D3D9408F 18000080
	v_mov_b32_e32 v211, 0                                      // 00000000558C: 7FA60280
	v_accvgpr_write_b32 a144, 0                                // 000000005590: D3D94090 18000080
	v_mov_b32_e32 v212, 0                                      // 000000005598: 7FA80280
	v_accvgpr_write_b32 a145, 0                                // 00000000559C: D3D94091 18000080
	v_mov_b32_e32 v213, 0                                      // 0000000055A4: 7FAA0280
	v_accvgpr_write_b32 a146, 0                                // 0000000055A8: D3D94092 18000080
	v_mov_b32_e32 v214, 0                                      // 0000000055B0: 7FAC0280
	v_accvgpr_write_b32 a147, 0                                // 0000000055B4: D3D94093 18000080
	v_mov_b32_e32 v215, 0                                      // 0000000055BC: 7FAE0280
	v_accvgpr_write_b32 a148, 0                                // 0000000055C0: D3D94094 18000080
	v_mov_b32_e32 v216, 0                                      // 0000000055C8: 7FB00280
	v_accvgpr_write_b32 a149, 0                                // 0000000055CC: D3D94095 18000080
	v_mov_b32_e32 v217, 0                                      // 0000000055D4: 7FB20280
	v_accvgpr_write_b32 a150, 0                                // 0000000055D8: D3D94096 18000080
	v_mov_b32_e32 v218, 0                                      // 0000000055E0: 7FB40280
	v_accvgpr_write_b32 a151, 0                                // 0000000055E4: D3D94097 18000080
	v_mov_b32_e32 v219, 0                                      // 0000000055EC: 7FB60280
	v_accvgpr_write_b32 a152, 0                                // 0000000055F0: D3D94098 18000080
	v_mov_b32_e32 v220, 0                                      // 0000000055F8: 7FB80280
	v_accvgpr_write_b32 a153, 0                                // 0000000055FC: D3D94099 18000080
	v_mov_b32_e32 v221, 0                                      // 000000005604: 7FBA0280
	v_accvgpr_write_b32 a154, 0                                // 000000005608: D3D9409A 18000080
	v_mov_b32_e32 v222, 0                                      // 000000005610: 7FBC0280
	v_accvgpr_write_b32 a155, 0                                // 000000005614: D3D9409B 18000080
	v_mov_b32_e32 v223, 0                                      // 00000000561C: 7FBE0280
	v_accvgpr_write_b32 a156, 0                                // 000000005620: D3D9409C 18000080
	v_mov_b32_e32 v224, 0                                      // 000000005628: 7FC00280
	v_accvgpr_write_b32 a157, 0                                // 00000000562C: D3D9409D 18000080
	v_mov_b32_e32 v225, 0                                      // 000000005634: 7FC20280
	v_accvgpr_write_b32 a158, 0                                // 000000005638: D3D9409E 18000080
	v_mov_b32_e32 v226, 0                                      // 000000005640: 7FC40280
	v_accvgpr_write_b32 a159, 0                                // 000000005644: D3D9409F 18000080
	v_mov_b32_e32 v227, 0                                      // 00000000564C: 7FC60280
	v_mov_b32_e32 v156, 0                                      // 000000005650: 7F380280
	v_mov_b32_e32 v157, 0                                      // 000000005654: 7F3A0280
	v_mov_b32_e32 v158, 0                                      // 000000005658: 7F3C0280
	v_mov_b32_e32 v159, 0                                      // 00000000565C: 7F3E0280
	v_mov_b32_e32 v160, 0                                      // 000000005660: 7F400280
	v_mov_b32_e32 v161, 0                                      // 000000005664: 7F420280
	v_mov_b32_e32 v162, 0                                      // 000000005668: 7F440280
	v_mov_b32_e32 v163, 0                                      // 00000000566C: 7F460280
	v_mov_b32_e32 v148, 0                                      // 000000005670: 7F280280
	v_mov_b32_e32 v149, 0                                      // 000000005674: 7F2A0280
	v_mov_b32_e32 v150, 0                                      // 000000005678: 7F2C0280
	v_mov_b32_e32 v151, 0                                      // 00000000567C: 7F2E0280
	v_mov_b32_e32 v152, 0                                      // 000000005680: 7F300280
	v_mov_b32_e32 v153, 0                                      // 000000005684: 7F320280
	v_mov_b32_e32 v154, 0                                      // 000000005688: 7F340280
	v_mov_b32_e32 v155, 0                                      // 00000000568C: 7F360280
	s_waitcnt lgkmcnt(0)                                       // 000000005690: BF8CC07F
	s_barrier                                                  // 000000005694: BF8A0000
	buffer_load_dword v36, v1, s[8:11], 0 idxen                // 000000005698: E0502000 80022401
	buffer_load_dword v37, v2, s[8:11], 0 idxen                // 0000000056A0: E0502000 80022502
	buffer_load_dword v38, v3, s[8:11], 0 idxen                // 0000000056A8: E0502000 80022603
	buffer_load_dword v39, v4, s[8:11], 0 idxen                // 0000000056B0: E0502000 80022704
	buffer_load_dword v44, v228, s[20:23], 0 idxen             // 0000000056B8: E0502000 80052CE4
	buffer_load_dword v45, v229, s[20:23], 0 idxen             // 0000000056C0: E0502000 80052DE5
	buffer_load_dword v46, v230, s[20:23], 0 idxen             // 0000000056C8: E0502000 80052EE6
	buffer_load_dword v47, v231, s[20:23], 0 idxen             // 0000000056D0: E0502000 80052FE7
	buffer_load_dword v11, s[24:27], 0 idxen lds               // 0000000056D8: E0512000 8006000B
	s_add_u32 s60, 0x60, s59                                   // 0000000056E0: 803C3BFF 00000060
	s_cmp_lt_u32 s60, s58                                      // 0000000056E8: BF0A3A3C
	s_cselect_b32 s68, s68, 0                                  // 0000000056EC: 85448044
	s_cselect_b32 s100, s100, 0                                // 0000000056F0: 85648064
	s_cselect_b32 s69, s69, 0                                  // 0000000056F4: 85458045
	s_mov_b32 m0, s79                                          // 0000000056F8: BEFC004F
	v_add_u32_e32 v11, s69, v11                                // 0000000056FC: 68161645
	v_add_u32_e32 v1, s68, v1                                  // 000000005700: 68020244
	v_add_u32_e32 v2, s68, v2                                  // 000000005704: 68040444
	v_add_u32_e32 v3, s68, v3                                  // 000000005708: 68060644
	v_add_u32_e32 v4, s68, v4                                  // 00000000570C: 68080844
	v_add_u32_e32 v228, s100, v228                             // 000000005710: 69C9C864
	v_add_u32_e32 v229, s100, v229                             // 000000005714: 69CBCA64
	v_add_u32_e32 v230, s100, v230                             // 000000005718: 69CDCC64
	v_add_u32_e32 v231, s100, v231                             // 00000000571C: 69CFCE64
	v_mul_f32_e32 v140, s48, v140                              // 000000005720: 0B191830
	v_mul_f32_e32 v144, s48, v144                              // 000000005724: 0B212030
	v_perm_b32 v100, v41, v40, s63                             // 000000005728: D1ED0064 00FE5129
	v_perm_b32 v101, v41, v40, s64                             // 000000005730: D1ED0065 01025129
	v_perm_b32 v102, v43, v42, s63                             // 000000005738: D1ED0066 00FE552B
	v_perm_b32 v103, v43, v42, s64                             // 000000005740: D1ED0067 0102552B
	v_perm_b32 v104, v49, v48, s63                             // 000000005748: D1ED0068 00FE6131
	v_perm_b32 v105, v49, v48, s64                             // 000000005750: D1ED0069 01026131
	v_perm_b32 v106, v51, v50, s63                             // 000000005758: D1ED006A 00FE6533
	v_perm_b32 v107, v51, v50, s64                             // 000000005760: D1ED006B 01026533
	v_mov_b32_dpp v143, v140 quad_perm:[3,3,3,3] row_mask:0xf bank_mask:0xf// 000000005768: 7F1E02FA FF00FF8C
	v_mov_b32_dpp v142, v140 quad_perm:[2,2,2,2] row_mask:0xf bank_mask:0xf// 000000005770: 7F1C02FA FF00AA8C
	v_mov_b32_dpp v141, v140 quad_perm:[1,1,1,1] row_mask:0xf bank_mask:0xf// 000000005778: 7F1A02FA FF00558C
	v_mov_b32_dpp v140, v140 quad_perm:[0,0,0,0] row_mask:0xf bank_mask:0xf// 000000005780: 7F1802FA FF00008C
	v_mov_b32_dpp v147, v144 quad_perm:[3,3,3,3] row_mask:0xf bank_mask:0xf// 000000005788: 7F2602FA FF00FF90
	v_mov_b32_dpp v146, v144 quad_perm:[2,2,2,2] row_mask:0xf bank_mask:0xf// 000000005790: 7F2402FA FF00AA90
	v_mov_b32_dpp v145, v144 quad_perm:[1,1,1,1] row_mask:0xf bank_mask:0xf// 000000005798: 7F2202FA FF005590
	v_mov_b32_dpp v144, v144 quad_perm:[0,0,0,0] row_mask:0xf bank_mask:0xf// 0000000057A0: 7F2002FA FF000090
	s_waitcnt vmcnt(9)                                         // 0000000057A8: BF8C0F79
	s_barrier                                                  // 0000000057AC: BF8A0000
	s_cmp_lt_i32 s46, 2                                        // 0000000057B0: BF04822E
	s_cbranch_scc0 label_0E0E                                  // 0000000057B4: BF84078E
	s_nop 0                                                    // 0000000057B8: BF800000
	s_nop 0                                                    // 0000000057BC: BF800000

00000000000057c0 <label_0670>:
	s_waitcnt lgkmcnt(4)                                       // 0000000057C0: BF8CC47F
	s_barrier                                                  // 0000000057C4: BF8A0000
	v_mfma_f32_16x16x16_f16 v[52:55], a[96:97], a[0:1], 0      // 0000000057C8: D3CD0034 1A020160
	ds_write_b32 v13, v48 offset:8704                          // 0000000057D0: D81A2200 0000300D
	ds_write_b32 v13, v49 offset:9760                          // 0000000057D8: D81A2620 0000310D
	v_mfma_f32_16x16x16_f16 v[52:55], a[98:99], a[2:3], v[52:55]// 0000000057E0: D3CD0034 1CD20562
	v_mul_f32_e32 v148, s47, v148                              // 0000000057E8: 0B29282F
	v_mul_f32_e32 v149, s47, v149                              // 0000000057EC: 0B2B2A2F
	v_mfma_f32_16x16x16_f16 v[52:55], a[100:101], a[4:5], v[52:55]// 0000000057F0: D3CD0034 1CD20964
	ds_write_b32 v13, v50 offset:10880                         // 0000000057F8: D81A2A80 0000320D
	ds_write_b32 v13, v51 offset:11936                         // 000000005800: D81A2EA0 0000330D
	v_mfma_f32_16x16x16_f16 v[52:55], a[102:103], a[6:7], v[52:55]// 000000005808: D3CD0034 1CD20D66
	v_mul_f32_e32 v150, s47, v150                              // 000000005810: 0B2D2C2F
	v_mul_f32_e32 v151, s47, v151                              // 000000005814: 0B2F2E2F
	v_mfma_f32_16x16x16_f16 v[56:59], a[96:97], a[8:9], 0      // 000000005818: D3CD0038 1A021160
	ds_write_b64 v22, v[148:149] offset:31232                  // 000000005820: D89A7A00 00009416
	v_mfma_f32_16x16x16_f16 v[56:59], a[98:99], a[10:11], v[56:59]// 000000005828: D3CD0038 1CE21562
	v_mul_f32_e32 v152, s47, v152                              // 000000005830: 0B31302F
	v_mul_f32_e32 v153, s47, v153                              // 000000005834: 0B33322F
	v_mfma_f32_16x16x16_f16 v[56:59], a[100:101], a[12:13], v[56:59]// 000000005838: D3CD0038 1CE21964
	ds_write_b64 v22, v[150:151] offset:31744                  // 000000005840: D89A7C00 00009616
	v_mfma_f32_16x16x16_f16 v[56:59], a[102:103], a[14:15], v[56:59]// 000000005848: D3CD0038 1CE21D66
	v_mul_f32_e32 v154, s47, v154                              // 000000005850: 0B35342F
	v_mul_f32_e32 v155, s47, v155                              // 000000005854: 0B37362F
	v_mfma_f32_16x16x16_f16 v[60:63], a[96:97], a[16:17], 0    // 000000005858: D3CD003C 1A022160
	ds_write_b64 v22, v[152:153] offset:32256                  // 000000005860: D89A7E00 00009816
	v_mfma_f32_16x16x16_f16 v[60:63], a[98:99], a[18:19], v[60:63]// 000000005868: D3CD003C 1CF22562
	buffer_atomic_add_f32 v160, v8, s[32:35], 0 idxen          // 000000005870: E1342000 8008A008
	v_mfma_f32_16x16x16_f16 v[60:63], a[100:101], a[20:21], v[60:63]// 000000005878: D3CD003C 1CF22964
	ds_write_b64 v22, v[154:155] offset:32768                  // 000000005880: D89A8000 00009A16
	v_mfma_f32_16x16x16_f16 v[60:63], a[102:103], a[22:23], v[60:63]// 000000005888: D3CD003C 1CF22D66
	v_mfma_f32_16x16x16_f16 v[64:67], a[104:105], a[0:1], 0    // 000000005890: D3CD0040 1A020168
	ds_read_b128 v[124:127], v14 offset:13056                  // 000000005898: D9FE3300 7C00000E
	ds_write_b32 v13, v40                                      // 0000000058A0: D81A0000 0000280D
	v_mfma_f32_16x16x16_f16 v[64:67], a[106:107], a[2:3], v[64:67]// 0000000058A8: D3CD0040 1D02056A
	buffer_atomic_add_f32 v161, v9, s[32:35], 0 idxen          // 0000000058B0: E1342000 8008A109
	v_mfma_f32_16x16x16_f16 v[64:67], a[108:109], a[4:5], v[64:67]// 0000000058B8: D3CD0040 1D02096C
	v_mfma_f32_16x16x16_f16 v[64:67], a[110:111], a[6:7], v[64:67]// 0000000058C0: D3CD0040 1D020D6E
	ds_read_b128 v[128:131], v14 offset:13568                  // 0000000058C8: D9FE3500 8000000E
	ds_write_b32 v13, v41 offset:1056                          // 0000000058D0: D81A0420 0000290D
	v_mfma_f32_16x16x16_f16 v[68:71], a[104:105], a[8:9], 0    // 0000000058D8: D3CD0044 1A021168
	buffer_atomic_add_f32 v162, v8, s[32:35], 0 idxen offset:128// 0000000058E0: E1342080 8008A208
	v_mfma_f32_16x16x16_f16 v[68:71], a[106:107], a[10:11], v[68:71]// 0000000058E8: D3CD0044 1D12156A
	v_mfma_f32_16x16x16_f16 v[68:71], a[108:109], a[12:13], v[68:71]// 0000000058F0: D3CD0044 1D12196C
	ds_read_b128 v[132:135], v14 offset:15232                  // 0000000058F8: D9FE3B80 8400000E
	ds_write_b32 v13, v42 offset:2176                          // 000000005900: D81A0880 00002A0D
	v_mfma_f32_16x16x16_f16 v[68:71], a[110:111], a[14:15], v[68:71]// 000000005908: D3CD0044 1D121D6E
	v_mfma_f32_16x16x16_f16 v[72:75], a[104:105], a[16:17], 0  // 000000005910: D3CD0048 1A022168
	buffer_atomic_add_f32 v163, v9, s[32:35], 0 idxen offset:128// 000000005918: E1342080 8008A309
	v_mfma_f32_16x16x16_f16 v[72:75], a[106:107], a[18:19], v[72:75]// 000000005920: D3CD0048 1D22256A
	ds_read_b128 v[136:139], v14 offset:15744                  // 000000005928: D9FE3D80 8800000E
	ds_write_b32 v13, v43 offset:3232                          // 000000005930: D81A0CA0 00002B0D
	v_mfma_f32_16x16x16_f16 v[72:75], a[108:109], a[20:21], v[72:75]// 000000005938: D3CD0048 1D22296C
	v_mfma_f32_16x16x16_f16 v[72:75], a[110:111], a[22:23], v[72:75]// 000000005940: D3CD0048 1D222D6E
	s_cmp_eq_i32 s80, 0                                        // 000000005948: BF008050
	s_cbranch_scc1 label_07CD                                  // 00000000594C: BF8500F0
	s_cmp_lt_i32 s74, 6                                        // 000000005950: BF04864A
	s_cbranch_scc0 label_0754                                  // 000000005954: BF84007E
	s_lshl_b32 s60, s74, 5                                     // 000000005958: 8E3C854A
	s_lshl_b32 s61, 0, 4                                       // 00000000595C: 8E3D8480
	s_add_i32 s60, s60, s61                                    // 000000005960: 813C3D3C
	v_sub_i32 v32, v232, s60                                   // 000000005964: D29D0020 000079E8
	s_mov_b32 s61, 0                                           // 00000000596C: BEBD0080
	v_add_i32 v33, v32, s61                                    // 000000005970: D29C0021 00007B20
	v_cmp_gt_i32_e64 s[70:71], v33, 0                          // 000000005978: D0C40046 00010121
	v_cmp_gt_i32_e64 s[82:83], v33, 1                          // 000000005980: D0C40052 00010321
	v_cndmask_b32_e64 v52, v52, v178, s[70:71]                 // 000000005988: D1000034 011B6534
	v_cndmask_b32_e64 v53, v53, v178, s[82:83]                 // 000000005990: D1000035 014B6535
	v_cmp_gt_i32_e64 s[70:71], v33, 2                          // 000000005998: D0C40046 00010521
	v_cmp_gt_i32_e64 s[82:83], v33, 3                          // 0000000059A0: D0C40052 00010721
	v_cndmask_b32_e64 v54, v54, v178, s[70:71]                 // 0000000059A8: D1000036 011B6536
	v_cndmask_b32_e64 v55, v55, v178, s[82:83]                 // 0000000059B0: D1000037 014B6537
	s_mov_b32 s61, 64                                          // 0000000059B8: BEBD00C0
	v_add_i32 v33, v32, s61                                    // 0000000059BC: D29C0021 00007B20
	v_cmp_gt_i32_e64 s[70:71], v33, 0                          // 0000000059C4: D0C40046 00010121
	v_cmp_gt_i32_e64 s[82:83], v33, 1                          // 0000000059CC: D0C40052 00010321
	v_cndmask_b32_e64 v56, v56, v178, s[70:71]                 // 0000000059D4: D1000038 011B6538
	v_cndmask_b32_e64 v57, v57, v178, s[82:83]                 // 0000000059DC: D1000039 014B6539
	v_cmp_gt_i32_e64 s[70:71], v33, 2                          // 0000000059E4: D0C40046 00010521
	v_cmp_gt_i32_e64 s[82:83], v33, 3                          // 0000000059EC: D0C40052 00010721
	v_cndmask_b32_e64 v58, v58, v178, s[70:71]                 // 0000000059F4: D100003A 011B653A
	v_cndmask_b32_e64 v59, v59, v178, s[82:83]                 // 0000000059FC: D100003B 014B653B
	s_mov_b32 s61, 0x80                                        // 000000005A04: BEBD00FF 00000080
	v_add_i32 v33, v32, s61                                    // 000000005A0C: D29C0021 00007B20
	v_cmp_gt_i32_e64 s[70:71], v33, 0                          // 000000005A14: D0C40046 00010121
	v_cmp_gt_i32_e64 s[82:83], v33, 1                          // 000000005A1C: D0C40052 00010321
	v_cndmask_b32_e64 v60, v60, v178, s[70:71]                 // 000000005A24: D100003C 011B653C
	v_cndmask_b32_e64 v61, v61, v178, s[82:83]                 // 000000005A2C: D100003D 014B653D
	v_cmp_gt_i32_e64 s[70:71], v33, 2                          // 000000005A34: D0C40046 00010521
	v_cmp_gt_i32_e64 s[82:83], v33, 3                          // 000000005A3C: D0C40052 00010721
	v_cndmask_b32_e64 v62, v62, v178, s[70:71]                 // 000000005A44: D100003E 011B653E
	v_cndmask_b32_e64 v63, v63, v178, s[82:83]                 // 000000005A4C: D100003F 014B653F
	s_lshl_b32 s60, s74, 5                                     // 000000005A54: 8E3C854A
	s_lshl_b32 s61, 1, 4                                       // 000000005A58: 8E3D8481
	s_add_i32 s60, s60, s61                                    // 000000005A5C: 813C3D3C
	v_sub_i32 v32, v232, s60                                   // 000000005A60: D29D0020 000079E8
	s_mov_b32 s61, 0                                           // 000000005A68: BEBD0080
	v_add_i32 v33, v32, s61                                    // 000000005A6C: D29C0021 00007B20
	v_cmp_gt_i32_e64 s[70:71], v33, 0                          // 000000005A74: D0C40046 00010121
	v_cmp_gt_i32_e64 s[82:83], v33, 1                          // 000000005A7C: D0C40052 00010321
	v_cndmask_b32_e64 v64, v64, v178, s[70:71]                 // 000000005A84: D1000040 011B6540
	v_cndmask_b32_e64 v65, v65, v178, s[82:83]                 // 000000005A8C: D1000041 014B6541
	v_cmp_gt_i32_e64 s[70:71], v33, 2                          // 000000005A94: D0C40046 00010521
	v_cmp_gt_i32_e64 s[82:83], v33, 3                          // 000000005A9C: D0C40052 00010721
	v_cndmask_b32_e64 v66, v66, v178, s[70:71]                 // 000000005AA4: D1000042 011B6542
	v_cndmask_b32_e64 v67, v67, v178, s[82:83]                 // 000000005AAC: D1000043 014B6543
	s_mov_b32 s61, 64                                          // 000000005AB4: BEBD00C0
	v_add_i32 v33, v32, s61                                    // 000000005AB8: D29C0021 00007B20
	v_cmp_gt_i32_e64 s[70:71], v33, 0                          // 000000005AC0: D0C40046 00010121
	v_cmp_gt_i32_e64 s[82:83], v33, 1                          // 000000005AC8: D0C40052 00010321
	v_cndmask_b32_e64 v68, v68, v178, s[70:71]                 // 000000005AD0: D1000044 011B6544
	v_cndmask_b32_e64 v69, v69, v178, s[82:83]                 // 000000005AD8: D1000045 014B6545
	v_cmp_gt_i32_e64 s[70:71], v33, 2                          // 000000005AE0: D0C40046 00010521
	v_cmp_gt_i32_e64 s[82:83], v33, 3                          // 000000005AE8: D0C40052 00010721
	v_cndmask_b32_e64 v70, v70, v178, s[70:71]                 // 000000005AF0: D1000046 011B6546
	v_cndmask_b32_e64 v71, v71, v178, s[82:83]                 // 000000005AF8: D1000047 014B6547
	s_mov_b32 s61, 0x80                                        // 000000005B00: BEBD00FF 00000080
	v_add_i32 v33, v32, s61                                    // 000000005B08: D29C0021 00007B20
	v_cmp_gt_i32_e64 s[70:71], v33, 0                          // 000000005B10: D0C40046 00010121
	v_cmp_gt_i32_e64 s[82:83], v33, 1                          // 000000005B18: D0C40052 00010321
	v_cndmask_b32_e64 v72, v72, v178, s[70:71]                 // 000000005B20: D1000048 011B6548
	v_cndmask_b32_e64 v73, v73, v178, s[82:83]                 // 000000005B28: D1000049 014B6549
	v_cmp_gt_i32_e64 s[70:71], v33, 2                          // 000000005B30: D0C40046 00010521
	v_cmp_gt_i32_e64 s[82:83], v33, 3                          // 000000005B38: D0C40052 00010721
	v_cndmask_b32_e64 v74, v74, v178, s[70:71]                 // 000000005B40: D100004A 011B654A
	v_cndmask_b32_e64 v75, v75, v178, s[82:83]                 // 000000005B48: D100004B 014B654B

0000000000005b50 <label_0754>:
	s_cmp_lt_i32 s84, 0xc0                                     // 000000005B50: BF04FF54 000000C0
	s_cbranch_scc0 label_07CD                                  // 000000005B58: BF84006D
	s_cmp_le_i32 s84, 64                                       // 000000005B5C: BF05C054
	s_cbranch_scc1 label_0760                                  // 000000005B60: BF850007
	s_cmp_le_i32 s84, 0x80                                     // 000000005B64: BF05FF54 00000080
	s_cbranch_scc1 label_0784                                  // 000000005B6C: BF85001F
	s_cmp_lt_i32 s84, 0xc0                                     // 000000005B70: BF04FF54 000000C0
	s_cbranch_scc1 label_07A8                                  // 000000005B78: BF850040
	s_branch label_07CD                                        // 000000005B7C: BF820064

0000000000005b80 <label_0760>:
	s_mov_b32 s60, 0                                           // 000000005B80: BEBC0080
	v_and_b32_e32 v32, 15, v0                                  // 000000005B84: 2640008F
	v_add_u32_e64 v32, v32, s60                                // 000000005B88: D1340020 00007920
	v_mul_i32_i24_e64 v33, s46, 16                             // 000000005B90: D1060021 0001202E
	v_add_u32_e32 v32, v32, v33                                // 000000005B98: 68404320
	v_cmp_lt_u32_e64 s[60:61], v32, s84                        // 000000005B9C: D0C9003C 0000A920
	s_nop 1                                                    // 000000005BA4: BF800001
	v_cndmask_b32_e64 v52, v178, v52, s[60:61]                 // 000000005BA8: D1000034 00F269B2
	v_cndmask_b32_e64 v64, v178, v64, s[60:61]                 // 000000005BB0: D1000040 00F281B2
	v_cndmask_b32_e64 v53, v178, v53, s[60:61]                 // 000000005BB8: D1000035 00F26BB2
	v_cndmask_b32_e64 v65, v178, v65, s[60:61]                 // 000000005BC0: D1000041 00F283B2
	v_cndmask_b32_e64 v54, v178, v54, s[60:61]                 // 000000005BC8: D1000036 00F26DB2
	v_cndmask_b32_e64 v66, v178, v66, s[60:61]                 // 000000005BD0: D1000042 00F285B2
	v_cndmask_b32_e64 v55, v178, v55, s[60:61]                 // 000000005BD8: D1000037 00F26FB2
	v_cndmask_b32_e64 v67, v178, v67, s[60:61]                 // 000000005BE0: D1000043 00F287B2
	s_branch label_079F                                        // 000000005BE8: BF82001B

0000000000005bec <label_0784>:
	s_mov_b32 s60, 64                                          // 000000005BEC: BEBC00C0
	v_and_b32_e32 v32, 15, v0                                  // 000000005BF0: 2640008F
	v_add_u32_e64 v32, v32, s60                                // 000000005BF4: D1340020 00007920
	v_mul_i32_i24_e64 v33, s46, 16                             // 000000005BFC: D1060021 0001202E
	v_add_u32_e32 v32, v32, v33                                // 000000005C04: 68404320
	v_cmp_lt_u32_e64 s[60:61], v32, s84                        // 000000005C08: D0C9003C 0000A920
	s_nop 1                                                    // 000000005C10: BF800001
	v_cndmask_b32_e64 v56, v178, v56, s[60:61]                 // 000000005C14: D1000038 00F271B2
	v_cndmask_b32_e64 v68, v178, v68, s[60:61]                 // 000000005C1C: D1000044 00F289B2
	v_cndmask_b32_e64 v57, v178, v57, s[60:61]                 // 000000005C24: D1000039 00F273B2
	v_cndmask_b32_e64 v69, v178, v69, s[60:61]                 // 000000005C2C: D1000045 00F28BB2
	v_cndmask_b32_e64 v58, v178, v58, s[60:61]                 // 000000005C34: D100003A 00F275B2
	v_cndmask_b32_e64 v70, v178, v70, s[60:61]                 // 000000005C3C: D1000046 00F28DB2
	v_cndmask_b32_e64 v59, v178, v59, s[60:61]                 // 000000005C44: D100003B 00F277B2
	v_cndmask_b32_e64 v71, v178, v71, s[60:61]                 // 000000005C4C: D1000047 00F28FB2
	s_branch label_07C4                                        // 000000005C54: BF820025

0000000000005c58 <label_079F>:
	v_mov_b32_e32 v56, v178                                    // 000000005C58: 7E7003B2
	v_mov_b32_e32 v68, v178                                    // 000000005C5C: 7E8803B2
	v_mov_b32_e32 v57, v178                                    // 000000005C60: 7E7203B2
	v_mov_b32_e32 v69, v178                                    // 000000005C64: 7E8A03B2
	v_mov_b32_e32 v58, v178                                    // 000000005C68: 7E7403B2
	v_mov_b32_e32 v70, v178                                    // 000000005C6C: 7E8C03B2
	v_mov_b32_e32 v59, v178                                    // 000000005C70: 7E7603B2
	v_mov_b32_e32 v71, v178                                    // 000000005C74: 7E8E03B2
	s_branch label_07C4                                        // 000000005C78: BF82001C

0000000000005c7c <label_07A8>:
	s_mov_b32 s60, 0x80                                        // 000000005C7C: BEBC00FF 00000080
	v_and_b32_e32 v32, 15, v0                                  // 000000005C84: 2640008F
	v_add_u32_e64 v32, v32, s60                                // 000000005C88: D1340020 00007920
	v_mul_i32_i24_e64 v33, s46, 16                             // 000000005C90: D1060021 0001202E
	v_add_u32_e32 v32, v32, v33                                // 000000005C98: 68404320
	v_cmp_lt_u32_e64 s[60:61], v32, s84                        // 000000005C9C: D0C9003C 0000A920
	s_nop 1                                                    // 000000005CA4: BF800001
	v_cndmask_b32_e64 v60, v178, v60, s[60:61]                 // 000000005CA8: D100003C 00F279B2
	v_cndmask_b32_e64 v72, v178, v72, s[60:61]                 // 000000005CB0: D1000048 00F291B2
	v_cndmask_b32_e64 v61, v178, v61, s[60:61]                 // 000000005CB8: D100003D 00F27BB2
	v_cndmask_b32_e64 v73, v178, v73, s[60:61]                 // 000000005CC0: D1000049 00F293B2
	v_cndmask_b32_e64 v62, v178, v62, s[60:61]                 // 000000005CC8: D100003E 00F27DB2
	v_cndmask_b32_e64 v74, v178, v74, s[60:61]                 // 000000005CD0: D100004A 00F295B2
	v_cndmask_b32_e64 v63, v178, v63, s[60:61]                 // 000000005CD8: D100003F 00F27FB2
	v_cndmask_b32_e64 v75, v178, v75, s[60:61]                 // 000000005CE0: D100004B 00F297B2
	s_branch label_07CD                                        // 000000005CE8: BF820009

0000000000005cec <label_07C4>:
	v_mov_b32_e32 v60, v178                                    // 000000005CEC: 7E7803B2
	v_mov_b32_e32 v72, v178                                    // 000000005CF0: 7E9003B2
	v_mov_b32_e32 v61, v178                                    // 000000005CF4: 7E7A03B2
	v_mov_b32_e32 v73, v178                                    // 000000005CF8: 7E9203B2
	v_mov_b32_e32 v62, v178                                    // 000000005CFC: 7E7C03B2
	v_mov_b32_e32 v74, v178                                    // 000000005D00: 7E9403B2
	v_mov_b32_e32 v63, v178                                    // 000000005D04: 7E7E03B2
	v_mov_b32_e32 v75, v178                                    // 000000005D08: 7E9603B2
	s_branch label_07CD                                        // 000000005D0C: BF820000

0000000000005d10 <label_07CD>:
	s_addk_i32 s74, 0x1                                        // 000000005D10: B74A0001
	s_waitcnt lgkmcnt(8)                                       // 000000005D14: BF8CC87F
	s_barrier                                                  // 000000005D18: BF8A0000
	v_mfma_f32_16x16x16_f16 v[76:79], v[108:109], a[72:73], 0  // 000000005D1C: D3CD004C 1202916C
	ds_read_b128 a[96:99], v14 offset:4352                     // 000000005D24: DBFE1100 6000000E
	ds_read_b128 a[100:103], v14 offset:4864                   // 000000005D2C: DBFE1300 6400000E
	v_mfma_f32_16x16x16_f16 v[76:79], v[110:111], a[74:75], v[76:79]// 000000005D34: D3CD004C 1532956E
	v_fma_f32 v52, v52, s57, -v140                             // 000000005D3C: D1CB0034 86307334
	v_fma_f32 v53, v53, s57, -v141                             // 000000005D44: D1CB0035 86347335
	v_fma_f32 v54, v54, s57, -v142                             // 000000005D4C: D1CB0036 86387336
	v_fma_f32 v55, v55, s57, -v143                             // 000000005D54: D1CB0037 863C7337
	v_fma_f32 v56, v56, s57, -v140                             // 000000005D5C: D1CB0038 86307338
	v_fma_f32 v57, v57, s57, -v141                             // 000000005D64: D1CB0039 86347339
	v_mfma_f32_16x16x16_f16 v[76:79], v[112:113], a[76:77], v[76:79]// 000000005D6C: D3CD004C 15329970
	v_fma_f32 v58, v58, s57, -v142                             // 000000005D74: D1CB003A 8638733A
	v_fma_f32 v59, v59, s57, -v143                             // 000000005D7C: D1CB003B 863C733B
	v_fma_f32 v60, v60, s57, -v140                             // 000000005D84: D1CB003C 8630733C
	v_fma_f32 v61, v61, s57, -v141                             // 000000005D8C: D1CB003D 8634733D
	v_fma_f32 v62, v62, s57, -v142                             // 000000005D94: D1CB003E 8638733E
	v_fma_f32 v63, v63, s57, -v143                             // 000000005D9C: D1CB003F 863C733F
	v_mfma_f32_16x16x16_f16 v[76:79], v[114:115], a[78:79], v[76:79]// 000000005DA4: D3CD004C 15329D72
	v_fma_f32 v64, v64, s57, -v144                             // 000000005DAC: D1CB0040 86407340
	v_fma_f32 v65, v65, s57, -v145                             // 000000005DB4: D1CB0041 86447341
	v_fma_f32 v66, v66, s57, -v146                             // 000000005DBC: D1CB0042 86487342
	v_fma_f32 v67, v67, s57, -v147                             // 000000005DC4: D1CB0043 864C7343
	v_fma_f32 v68, v68, s57, -v144                             // 000000005DCC: D1CB0044 86407344
	v_fma_f32 v69, v69, s57, -v145                             // 000000005DD4: D1CB0045 86447345
	v_mfma_f32_16x16x16_f16 v[80:83], v[108:109], a[80:81], 0  // 000000005DDC: D3CD0050 1202A16C
	ds_read_b128 a[104:107], v14 offset:6528                   // 000000005DE4: DBFE1980 6800000E
	ds_read_b128 a[108:111], v14 offset:7040                   // 000000005DEC: DBFE1B80 6C00000E
	v_mfma_f32_16x16x16_f16 v[80:83], v[110:111], a[82:83], v[80:83]// 000000005DF4: D3CD0050 1542A56E
	v_fma_f32 v70, v70, s57, -v146                             // 000000005DFC: D1CB0046 86487346
	v_fma_f32 v71, v71, s57, -v147                             // 000000005E04: D1CB0047 864C7347
	v_fma_f32 v72, v72, s57, -v144                             // 000000005E0C: D1CB0048 86407348
	v_fma_f32 v73, v73, s57, -v145                             // 000000005E14: D1CB0049 86447349
	v_fma_f32 v74, v74, s57, -v146                             // 000000005E1C: D1CB004A 8648734A
	v_fma_f32 v75, v75, s57, -v147                             // 000000005E24: D1CB004B 864C734B
	v_mfma_f32_16x16x16_f16 v[80:83], v[112:113], a[84:85], v[80:83]// 000000005E2C: D3CD0050 1542A970
	v_exp_f32_e32 v52, v52                                     // 000000005E34: 7E684134
	v_exp_f32_e32 v53, v53                                     // 000000005E38: 7E6A4135
	v_mfma_f32_16x16x16_f16 v[80:83], v[114:115], a[86:87], v[80:83]// 000000005E3C: D3CD0050 1542AD72
	v_exp_f32_e32 v54, v54                                     // 000000005E44: 7E6C4136
	v_exp_f32_e32 v55, v55                                     // 000000005E48: 7E6E4137
	v_mfma_f32_16x16x16_f16 v[84:87], v[108:109], a[88:89], 0  // 000000005E4C: D3CD0054 1202B16C
	ds_read_b64 v[156:157], v21 offset:31232                   // 000000005E54: D8EC7A00 9C000015
	ds_read_b64 v[158:159], v21 offset:33280                   // 000000005E5C: D8EC8200 9E000015
	v_mfma_f32_16x16x16_f16 v[84:87], v[110:111], a[90:91], v[84:87]// 000000005E64: D3CD0054 1552B56E
	v_exp_f32_e32 v56, v56                                     // 000000005E6C: 7E704138
	v_exp_f32_e32 v57, v57                                     // 000000005E70: 7E724139
	v_mfma_f32_16x16x16_f16 v[84:87], v[112:113], a[92:93], v[84:87]// 000000005E74: D3CD0054 1552B970
	ds_read_b64 v[160:161], v21 offset:35328                   // 000000005E7C: D8EC8A00 A0000015
	ds_read_b64 v[162:163], v21 offset:37376                   // 000000005E84: D8EC9200 A2000015
	v_mfma_f32_16x16x16_f16 v[84:87], v[114:115], a[94:95], v[84:87]// 000000005E8C: D3CD0054 1552BD72
	v_exp_f32_e32 v58, v58                                     // 000000005E94: 7E74413A
	v_exp_f32_e32 v59, v59                                     // 000000005E98: 7E76413B
	v_mfma_f32_16x16x16_f16 v[88:91], v[116:117], a[72:73], 0  // 000000005E9C: D3CD0058 12029174
	v_exp_f32_e32 v60, v60                                     // 000000005EA4: 7E78413C
	v_exp_f32_e32 v61, v61                                     // 000000005EA8: 7E7A413D
	v_mfma_f32_16x16x16_f16 v[88:91], v[118:119], a[74:75], v[88:91]// 000000005EAC: D3CD0058 15629576
	v_exp_f32_e32 v62, v62                                     // 000000005EB4: 7E7C413E
	v_exp_f32_e32 v63, v63                                     // 000000005EB8: 7E7E413F
	v_mfma_f32_16x16x16_f16 v[88:91], v[120:121], a[76:77], v[88:91]// 000000005EBC: D3CD0058 15629978
	v_exp_f32_e32 v64, v64                                     // 000000005EC4: 7E804140
	v_exp_f32_e32 v65, v65                                     // 000000005EC8: 7E824141
	v_mfma_f32_16x16x16_f16 v[88:91], v[122:123], a[78:79], v[88:91]// 000000005ECC: D3CD0058 15629D7A
	v_exp_f32_e32 v66, v66                                     // 000000005ED4: 7E844142
	v_exp_f32_e32 v67, v67                                     // 000000005ED8: 7E864143
	v_mfma_f32_16x16x16_f16 v[92:95], v[116:117], a[80:81], 0  // 000000005EDC: D3CD005C 1202A174
	v_exp_f32_e32 v68, v68                                     // 000000005EE4: 7E884144
	v_exp_f32_e32 v69, v69                                     // 000000005EE8: 7E8A4145
	v_mfma_f32_16x16x16_f16 v[92:95], v[118:119], a[82:83], v[92:95]// 000000005EEC: D3CD005C 1572A576
	v_exp_f32_e32 v70, v70                                     // 000000005EF4: 7E8C4146
	v_exp_f32_e32 v71, v71                                     // 000000005EF8: 7E8E4147
	v_mfma_f32_16x16x16_f16 v[92:95], v[120:121], a[84:85], v[92:95]// 000000005EFC: D3CD005C 1572A978
	v_exp_f32_e32 v72, v72                                     // 000000005F04: 7E904148
	v_exp_f32_e32 v73, v73                                     // 000000005F08: 7E924149
	v_mfma_f32_16x16x16_f16 v[92:95], v[122:123], a[86:87], v[92:95]// 000000005F0C: D3CD005C 1572AD7A
	v_exp_f32_e32 v74, v74                                     // 000000005F14: 7E94414A
	v_exp_f32_e32 v75, v75                                     // 000000005F18: 7E96414B
	v_mfma_f32_16x16x16_f16 v[96:99], v[116:117], a[88:89], 0  // 000000005F1C: D3CD0060 1202B174
	v_cvt_pkrtz_f16_f32 v164, v52, v53                         // 000000005F24: D29600A4 00026B34
	v_cvt_pkrtz_f16_f32 v165, v54, v55                         // 000000005F2C: D29600A5 00026F36
	v_cvt_pkrtz_f16_f32 v166, v56, v57                         // 000000005F34: D29600A6 00027338
	v_cvt_pkrtz_f16_f32 v167, v58, v59                         // 000000005F3C: D29600A7 0002773A
	v_cvt_pkrtz_f16_f32 v168, v60, v61                         // 000000005F44: D29600A8 00027B3C
	v_cvt_pkrtz_f16_f32 v169, v62, v63                         // 000000005F4C: D29600A9 00027F3E
	v_mfma_f32_16x16x16_f16 v[96:99], v[118:119], a[90:91], v[96:99]// 000000005F54: D3CD0060 1582B576
	v_cvt_pkrtz_f16_f32 v170, v64, v65                         // 000000005F5C: D29600AA 00028340
	v_cvt_pkrtz_f16_f32 v171, v66, v67                         // 000000005F64: D29600AB 00028742
	v_cvt_pkrtz_f16_f32 v172, v68, v69                         // 000000005F6C: D29600AC 00028B44
	v_cvt_pkrtz_f16_f32 v173, v70, v71                         // 000000005F74: D29600AD 00028F46
	v_cvt_pkrtz_f16_f32 v174, v72, v73                         // 000000005F7C: D29600AE 00029348
	v_cvt_pkrtz_f16_f32 v175, v74, v75                         // 000000005F84: D29600AF 0002974A
	v_mfma_f32_16x16x16_f16 v[96:99], v[120:121], a[92:93], v[96:99]// 000000005F8C: D3CD0060 1582B978
	v_add_u32_e32 v6, s66, v6                                  // 000000005F94: 680C0C42
	v_add_u32_e32 v7, s66, v7                                  // 000000005F98: 680E0E42
	v_add_u32_e32 v8, s66, v8                                  // 000000005F9C: 68101042
	v_add_u32_e32 v9, s66, v9                                  // 000000005FA0: 68121242
	v_mfma_f32_16x16x16_f16 v[96:99], v[122:123], a[94:95], v[96:99]// 000000005FA4: D3CD0060 1582BD7A
	s_waitcnt lgkmcnt(0)                                       // 000000005FAC: BF8CC07F
	s_barrier                                                  // 000000005FB0: BF8A0000
	v_mfma_f32_16x16x16_f16 v[180:183], v[124:125], v[164:165], v[180:183]// 000000005FB4: D3CD00B4 06D3497C
	v_subrev_f32_dpp v76, v176, v76 quad_perm:[0,0,0,0] row_mask:0xf bank_mask:0xf// 000000005FBC: 069898FA FF0000B0
	v_subrev_f32_dpp v77, v176, v77 quad_perm:[1,1,1,1] row_mask:0xf bank_mask:0xf// 000000005FC4: 069A9AFA FF0055B0
	v_subrev_f32_dpp v78, v176, v78 quad_perm:[2,2,2,2] row_mask:0xf bank_mask:0xf// 000000005FCC: 069C9CFA FF00AAB0
	v_subrev_f32_dpp v79, v176, v79 quad_perm:[3,3,3,3] row_mask:0xf bank_mask:0xf// 000000005FD4: 069E9EFA FF00FFB0
	v_subrev_f32_dpp v80, v176, v80 quad_perm:[0,0,0,0] row_mask:0xf bank_mask:0xf// 000000005FDC: 06A0A0FA FF0000B0
	v_subrev_f32_dpp v81, v176, v81 quad_perm:[1,1,1,1] row_mask:0xf bank_mask:0xf// 000000005FE4: 06A2A2FA FF0055B0
	v_mfma_f32_16x16x16_f16 v[184:187], v[126:127], v[164:165], v[184:187]// 000000005FEC: D3CD00B8 06E3497E
	v_subrev_f32_dpp v82, v176, v82 quad_perm:[2,2,2,2] row_mask:0xf bank_mask:0xf// 000000005FF4: 06A4A4FA FF00AAB0
	v_subrev_f32_dpp v83, v176, v83 quad_perm:[3,3,3,3] row_mask:0xf bank_mask:0xf// 000000005FFC: 06A6A6FA FF00FFB0
	v_subrev_f32_dpp v84, v176, v84 quad_perm:[0,0,0,0] row_mask:0xf bank_mask:0xf// 000000006004: 06A8A8FA FF0000B0
	v_subrev_f32_dpp v85, v176, v85 quad_perm:[1,1,1,1] row_mask:0xf bank_mask:0xf// 00000000600C: 06AAAAFA FF0055B0
	v_subrev_f32_dpp v86, v176, v86 quad_perm:[2,2,2,2] row_mask:0xf bank_mask:0xf// 000000006014: 06ACACFA FF00AAB0
	v_subrev_f32_dpp v87, v176, v87 quad_perm:[3,3,3,3] row_mask:0xf bank_mask:0xf// 00000000601C: 06AEAEFA FF00FFB0
	v_mfma_f32_16x16x16_f16 v[188:191], v[128:129], v[164:165], v[188:191]// 000000006024: D3CD00BC 06F34980
	v_mul_f32_e32 v76, v52, v76                                // 00000000602C: 0A989934
	v_mul_f32_e32 v77, v53, v77                                // 000000006030: 0A9A9B35
	v_mul_f32_e32 v78, v54, v78                                // 000000006034: 0A9C9D36
	v_mul_f32_e32 v79, v55, v79                                // 000000006038: 0A9E9F37
	v_mul_f32_e32 v80, v56, v80                                // 00000000603C: 0AA0A138
	v_mul_f32_e32 v81, v57, v81                                // 000000006040: 0AA2A339
	v_mfma_f32_16x16x16_f16 v[192:195], v[130:131], v[164:165], v[192:195]// 000000006044: D3CD00C0 07034982
	v_mul_f32_e32 v82, v58, v82                                // 00000000604C: 0AA4A53A
	v_mul_f32_e32 v83, v59, v83                                // 000000006050: 0AA6A73B
	v_mul_f32_e32 v84, v60, v84                                // 000000006054: 0AA8A93C
	v_mul_f32_e32 v85, v61, v85                                // 000000006058: 0AAAAB3D
	v_mul_f32_e32 v86, v62, v86                                // 00000000605C: 0AACAD3E
	v_mul_f32_e32 v87, v63, v87                                // 000000006060: 0AAEAF3F
	v_mfma_f32_16x16x16_f16 v[196:199], v[124:125], v[166:167], v[196:199]// 000000006064: D3CD00C4 07134D7C
	v_cvt_pkrtz_f16_f32 v76, v76, v77                          // 00000000606C: D296004C 00029B4C
	v_cvt_pkrtz_f16_f32 v77, v78, v79                          // 000000006074: D296004D 00029F4E
	v_cvt_pkrtz_f16_f32 v78, v80, v81                          // 00000000607C: D296004E 0002A350
	v_cvt_pkrtz_f16_f32 v79, v82, v83                          // 000000006084: D296004F 0002A752
	v_cvt_pkrtz_f16_f32 v80, v84, v85                          // 00000000608C: D2960050 0002AB54
	v_cvt_pkrtz_f16_f32 v81, v86, v87                          // 000000006094: D2960051 0002AF56
	v_mfma_f32_16x16x16_f16 v[200:203], v[126:127], v[166:167], v[200:203]// 00000000609C: D3CD00C8 07234D7E
	v_mov_b32_dpp v18, v76 quad_perm:[1,0,3,2] row_mask:0xf bank_mask:0xf// 0000000060A4: 7E2402FA FF00B14C
	v_perm_b32 v52, v18, v76, v17                              // 0000000060AC: D1ED0034 04469912
	v_mov_b32_dpp v18, v77 quad_perm:[1,0,3,2] row_mask:0xf bank_mask:0xf// 0000000060B4: 7E2402FA FF00B14D
	v_perm_b32 v53, v18, v77, v17                              // 0000000060BC: D1ED0035 04469B12
	v_mov_b32_dpp v18, v78 quad_perm:[1,0,3,2] row_mask:0xf bank_mask:0xf// 0000000060C4: 7E2402FA FF00B14E
	v_perm_b32 v54, v18, v78, v17                              // 0000000060CC: D1ED0036 04469D12
	v_mfma_f32_16x16x16_f16 v[204:207], v[128:129], v[166:167], v[204:207]// 0000000060D4: D3CD00CC 07334D80
	v_mov_b32_dpp v18, v79 quad_perm:[1,0,3,2] row_mask:0xf bank_mask:0xf// 0000000060DC: 7E2402FA FF00B14F
	v_perm_b32 v55, v18, v79, v17                              // 0000000060E4: D1ED0037 04469F12
	v_mov_b32_dpp v18, v80 quad_perm:[1,0,3,2] row_mask:0xf bank_mask:0xf// 0000000060EC: 7E2402FA FF00B150
	v_perm_b32 v56, v18, v80, v17                              // 0000000060F4: D1ED0038 0446A112
	v_mov_b32_dpp v18, v81 quad_perm:[1,0,3,2] row_mask:0xf bank_mask:0xf// 0000000060FC: 7E2402FA FF00B151
	v_perm_b32 v57, v18, v81, v17                              // 000000006104: D1ED0039 0446A312
	v_mfma_f32_16x16x16_f16 v[208:211], v[130:131], v[166:167], v[208:211]// 00000000610C: D3CD00D0 07434D82
	ds_write_b32 v20, v52 offset:17408                         // 000000006114: D81A4400 00003414
	ds_write_b32 v20, v53 offset:17952                         // 00000000611C: D81A4620 00003514
	v_mfma_f32_16x16x16_f16 v[212:215], v[124:125], v[168:169], v[212:215]// 000000006124: D3CD00D4 0753517C
	v_subrev_f32_dpp v88, v177, v88 quad_perm:[0,0,0,0] row_mask:0xf bank_mask:0xf// 00000000612C: 06B0B0FA FF0000B1
	v_subrev_f32_dpp v89, v177, v89 quad_perm:[1,1,1,1] row_mask:0xf bank_mask:0xf// 000000006134: 06B2B2FA FF0055B1
	v_subrev_f32_dpp v90, v177, v90 quad_perm:[2,2,2,2] row_mask:0xf bank_mask:0xf// 00000000613C: 06B4B4FA FF00AAB1
	v_subrev_f32_dpp v91, v177, v91 quad_perm:[3,3,3,3] row_mask:0xf bank_mask:0xf// 000000006144: 06B6B6FA FF00FFB1
	v_subrev_f32_dpp v92, v177, v92 quad_perm:[0,0,0,0] row_mask:0xf bank_mask:0xf// 00000000614C: 06B8B8FA FF0000B1
	v_subrev_f32_dpp v93, v177, v93 quad_perm:[1,1,1,1] row_mask:0xf bank_mask:0xf// 000000006154: 06BABAFA FF0055B1
	v_mfma_f32_16x16x16_f16 v[216:219], v[126:127], v[168:169], v[216:219]// 00000000615C: D3CD00D8 0763517E
	ds_write_b32 v20, v54 offset:19712                         // 000000006164: D81A4D00 00003614
	ds_write_b32 v20, v55 offset:20256                         // 00000000616C: D81A4F20 00003714
	v_mfma_f32_16x16x16_f16 v[220:223], v[128:129], v[168:169], v[220:223]// 000000006174: D3CD00DC 07735180
	v_subrev_f32_dpp v94, v177, v94 quad_perm:[2,2,2,2] row_mask:0xf bank_mask:0xf// 00000000617C: 06BCBCFA FF00AAB1
	v_subrev_f32_dpp v95, v177, v95 quad_perm:[3,3,3,3] row_mask:0xf bank_mask:0xf// 000000006184: 06BEBEFA FF00FFB1
	v_subrev_f32_dpp v96, v177, v96 quad_perm:[0,0,0,0] row_mask:0xf bank_mask:0xf// 00000000618C: 06C0C0FA FF0000B1
	v_subrev_f32_dpp v97, v177, v97 quad_perm:[1,1,1,1] row_mask:0xf bank_mask:0xf// 000000006194: 06C2C2FA FF0055B1
	v_subrev_f32_dpp v98, v177, v98 quad_perm:[2,2,2,2] row_mask:0xf bank_mask:0xf// 00000000619C: 06C4C4FA FF00AAB1
	v_subrev_f32_dpp v99, v177, v99 quad_perm:[3,3,3,3] row_mask:0xf bank_mask:0xf// 0000000061A4: 06C6C6FA FF00FFB1
	v_mfma_f32_16x16x16_f16 v[224:227], v[130:131], v[168:169], v[224:227]// 0000000061AC: D3CD00E0 07835182
	ds_write_b32 v20, v56 offset:22016                         // 0000000061B4: D81A5600 00003814
	ds_write_b32 v20, v57 offset:22560                         // 0000000061BC: D81A5820 00003914
	v_mfma_f32_16x16x16_f16 v[180:183], v[132:133], v[170:171], v[180:183]// 0000000061C4: D3CD00B4 06D35584
	v_mul_f32_e32 v88, v64, v88                                // 0000000061CC: 0AB0B140
	v_mul_f32_e32 v89, v65, v89                                // 0000000061D0: 0AB2B341
	v_mul_f32_e32 v90, v66, v90                                // 0000000061D4: 0AB4B542
	v_mul_f32_e32 v91, v67, v91                                // 0000000061D8: 0AB6B743
	v_mul_f32_e32 v92, v68, v92                                // 0000000061DC: 0AB8B944
	v_mul_f32_e32 v93, v69, v93                                // 0000000061E0: 0ABABB45
	v_mfma_f32_16x16x16_f16 v[184:187], v[134:135], v[170:171], v[184:187]// 0000000061E4: D3CD00B8 06E35586
	v_mul_f32_e32 v94, v70, v94                                // 0000000061EC: 0ABCBD46
	v_mul_f32_e32 v95, v71, v95                                // 0000000061F0: 0ABEBF47
	v_mul_f32_e32 v96, v72, v96                                // 0000000061F4: 0AC0C148
	v_mul_f32_e32 v97, v73, v97                                // 0000000061F8: 0AC2C349
	v_mul_f32_e32 v98, v74, v98                                // 0000000061FC: 0AC4C54A
	v_mul_f32_e32 v99, v75, v99                                // 000000006200: 0AC6C74B
	v_mfma_f32_16x16x16_f16 v[188:191], v[136:137], v[170:171], v[188:191]// 000000006204: D3CD00BC 06F35588
	v_cvt_pkrtz_f16_f32 v82, v88, v89                          // 00000000620C: D2960052 0002B358
	v_cvt_pkrtz_f16_f32 v83, v90, v91                          // 000000006214: D2960053 0002B75A
	v_cvt_pkrtz_f16_f32 v84, v92, v93                          // 00000000621C: D2960054 0002BB5C
	v_cvt_pkrtz_f16_f32 v85, v94, v95                          // 000000006224: D2960055 0002BF5E
	v_cvt_pkrtz_f16_f32 v86, v96, v97                          // 00000000622C: D2960056 0002C360
	v_cvt_pkrtz_f16_f32 v87, v98, v99                          // 000000006234: D2960057 0002C762
	v_mfma_f32_16x16x16_f16 v[192:195], v[138:139], v[170:171], v[192:195]// 00000000623C: D3CD00C0 0703558A
	v_mov_b32_dpp v18, v82 quad_perm:[1,0,3,2] row_mask:0xf bank_mask:0xf// 000000006244: 7E2402FA FF00B152
	v_perm_b32 v58, v18, v82, v17                              // 00000000624C: D1ED003A 0446A512
	v_mov_b32_dpp v18, v83 quad_perm:[1,0,3,2] row_mask:0xf bank_mask:0xf// 000000006254: 7E2402FA FF00B153
	v_perm_b32 v59, v18, v83, v17                              // 00000000625C: D1ED003B 0446A712
	v_mov_b32_dpp v18, v84 quad_perm:[1,0,3,2] row_mask:0xf bank_mask:0xf// 000000006264: 7E2402FA FF00B154
	v_perm_b32 v60, v18, v84, v17                              // 00000000626C: D1ED003C 0446A912
	v_mfma_f32_16x16x16_f16 v[196:199], v[132:133], v[172:173], v[196:199]// 000000006274: D3CD00C4 07135984
	v_mov_b32_dpp v18, v85 quad_perm:[1,0,3,2] row_mask:0xf bank_mask:0xf// 00000000627C: 7E2402FA FF00B155
	v_perm_b32 v61, v18, v85, v17                              // 000000006284: D1ED003D 0446AB12
	v_mov_b32_dpp v18, v86 quad_perm:[1,0,3,2] row_mask:0xf bank_mask:0xf// 00000000628C: 7E2402FA FF00B156
	v_perm_b32 v62, v18, v86, v17                              // 000000006294: D1ED003E 0446AD12
	v_mov_b32_dpp v18, v87 quad_perm:[1,0,3,2] row_mask:0xf bank_mask:0xf// 00000000629C: 7E2402FA FF00B157
	v_perm_b32 v63, v18, v87, v17                              // 0000000062A4: D1ED003F 0446AF12
	v_mfma_f32_16x16x16_f16 v[200:203], v[134:135], v[172:173], v[200:203]// 0000000062AC: D3CD00C8 07235986
	ds_write_b32 v20, v58 offset:24320                         // 0000000062B4: D81A5F00 00003A14
	ds_write_b32 v20, v59 offset:24864                         // 0000000062BC: D81A6120 00003B14
	v_mfma_f32_16x16x16_f16 v[204:207], v[136:137], v[172:173], v[204:207]// 0000000062C4: D3CD00CC 07335988
	v_mfma_f32_16x16x16_f16 v[208:211], v[138:139], v[172:173], v[208:211]// 0000000062CC: D3CD00D0 0743598A
	ds_write_b32 v20, v60 offset:26624                         // 0000000062D4: D81A6800 00003C14
	ds_write_b32 v20, v61 offset:27168                         // 0000000062DC: D81A6A20 00003D14
	ds_write_b32 v20, v62 offset:28928                         // 0000000062E4: D81A7100 00003E14
	ds_write_b32 v20, v63 offset:29472                         // 0000000062EC: D81A7320 00003F14
	v_mfma_f32_16x16x16_f16 v[212:215], v[132:133], v[174:175], v[212:215]// 0000000062F4: D3CD00D4 07535D84
	v_mfma_f32_16x16x16_f16 v[216:219], v[134:135], v[174:175], v[216:219]// 0000000062FC: D3CD00D8 07635D86
	ds_write_b32 v15, v100 offset:4352                         // 000000006304: D81A1100 0000640F
	ds_write_b32 v15, v101 offset:5408                         // 00000000630C: D81A1520 0000650F
	v_mfma_f32_16x16x16_f16 v[220:223], v[136:137], v[174:175], v[220:223]// 000000006314: D3CD00DC 07735D88
	s_nop 0                                                    // 00000000631C: BF800000
	s_nop 0                                                    // 000000006320: BF800000
	s_nop 0                                                    // 000000006324: BF800000
	v_mfma_f32_16x16x16_f16 v[224:227], v[138:139], v[174:175], v[224:227]// 000000006328: D3CD00E0 07835D8A
	ds_write_b32 v15, v102 offset:6528                         // 000000006330: D81A1980 0000660F
	ds_write_b32 v15, v103 offset:7584                         // 000000006338: D81A1DA0 0000670F
	s_barrier                                                  // 000000006340: BF8A0000
	v_mfma_f32_16x16x16_f16 a[112:115], a[96:97], v[76:77], a[112:115]// 000000006344: D3CD8070 0DC29960
	buffer_atomic_add_f32 v156, v6, s[32:35], 0 idxen          // 00000000634C: E1342000 80089C06
	v_mfma_f32_16x16x16_f16 a[116:119], a[98:99], v[76:77], a[116:119]// 000000006354: D3CD8074 0DD29962
	ds_read_b32 v140, v23 offset:39936                         // 00000000635C: D86C9C00 8C000017
	ds_read_b32 v144, v23 offset:40000                         // 000000006364: D86C9C40 90000017
	ds_read_b32 v176, v23 offset:40192                         // 00000000636C: D86C9D00 B0000017
	ds_read_b32 v177, v23 offset:40256                         // 000000006374: D86C9D40 B1000017
	v_mfma_f32_16x16x16_f16 a[120:123], a[100:101], v[76:77], a[120:123]// 00000000637C: D3CD8078 0DE29964
	s_waitcnt lgkmcnt(8)                                       // 000000006384: BF8CC87F
	s_barrier                                                  // 000000006388: BF8A0000
	v_mfma_f32_16x16x16_f16 a[124:127], a[102:103], v[76:77], a[124:127]// 00000000638C: D3CD807C 0DF29966
	ds_read_b128 v[52:55], v19 offset:17408                    // 000000006394: D9FE4400 34000013
	v_mfma_f32_16x16x16_f16 a[128:131], a[96:97], v[78:79], a[128:131]// 00000000639C: D3CD8080 0E029D60
	v_mfma_f32_16x16x16_f16 a[132:135], a[98:99], v[78:79], a[132:135]// 0000000063A4: D3CD8084 0E129D62
	ds_read_b128 v[56:59], v19 offset:18560                    // 0000000063AC: D9FE4880 38000013
	v_mfma_f32_16x16x16_f16 a[136:139], a[100:101], v[78:79], a[136:139]// 0000000063B4: D3CD8088 0E229D64
	buffer_atomic_add_f32 v157, v7, s[32:35], 0 idxen          // 0000000063BC: E1342000 80089D07
	v_mfma_f32_16x16x16_f16 a[140:143], a[102:103], v[78:79], a[140:143]// 0000000063C4: D3CD808C 0E329D66
	ds_read_b128 v[60:63], v19 offset:19712                    // 0000000063CC: D9FE4D00 3C000013
	v_mfma_f32_16x16x16_f16 a[144:147], a[96:97], v[80:81], a[144:147]// 0000000063D4: D3CD8090 0E42A160
	v_mfma_f32_16x16x16_f16 a[148:151], a[98:99], v[80:81], a[148:151]// 0000000063DC: D3CD8094 0E52A162
	ds_read_b128 v[64:67], v19 offset:20864                    // 0000000063E4: D9FE5180 40000013
	v_mfma_f32_16x16x16_f16 a[152:155], a[100:101], v[80:81], a[152:155]// 0000000063EC: D3CD8098 0E62A164
	v_mfma_f32_16x16x16_f16 a[156:159], a[102:103], v[80:81], a[156:159]// 0000000063F4: D3CD809C 0E72A166
	ds_read_b128 v[68:71], v19 offset:22016                    // 0000000063FC: D9FE5600 44000013
	v_mfma_f32_16x16x16_f16 a[112:115], a[104:105], v[82:83], a[112:115]// 000000006404: D3CD8070 0DC2A568
	buffer_atomic_add_f32 v158, v6, s[32:35], 0 idxen offset:128// 00000000640C: E1342080 80089E06
	v_mfma_f32_16x16x16_f16 a[116:119], a[106:107], v[82:83], a[116:119]// 000000006414: D3CD8074 0DD2A56A
	ds_read_b128 v[72:75], v19 offset:23168                    // 00000000641C: D9FE5A80 48000013
	v_mfma_f32_16x16x16_f16 a[120:123], a[108:109], v[82:83], a[120:123]// 000000006424: D3CD8078 0DE2A56C
	v_mfma_f32_16x16x16_f16 a[124:127], a[110:111], v[82:83], a[124:127]// 00000000642C: D3CD807C 0DF2A56E
	ds_write_b32 v15, v104 offset:13056                        // 000000006434: D81A3300 0000680F
	v_mfma_f32_16x16x16_f16 a[128:131], a[104:105], v[84:85], a[128:131]// 00000000643C: D3CD8080 0E02A968
	v_mfma_f32_16x16x16_f16 a[132:135], a[106:107], v[84:85], a[132:135]// 000000006444: D3CD8084 0E12A96A
	ds_write_b32 v15, v105 offset:14112                        // 00000000644C: D81A3720 0000690F
	v_mfma_f32_16x16x16_f16 a[136:139], a[108:109], v[84:85], a[136:139]// 000000006454: D3CD8088 0E22A96C
	buffer_atomic_add_f32 v159, v7, s[32:35], 0 idxen offset:128// 00000000645C: E1342080 80089F07
	v_mfma_f32_16x16x16_f16 a[140:143], a[110:111], v[84:85], a[140:143]// 000000006464: D3CD808C 0E32A96E
	ds_write_b32 v15, v106 offset:15232                        // 00000000646C: D81A3B80 00006A0F
	v_mfma_f32_16x16x16_f16 a[144:147], a[104:105], v[86:87], a[144:147]// 000000006474: D3CD8090 0E42AD68
	v_mfma_f32_16x16x16_f16 a[148:151], a[106:107], v[86:87], a[148:151]// 00000000647C: D3CD8094 0E52AD6A
	ds_write_b32 v15, v107 offset:16288                        // 000000006484: D81A3FA0 00006B0F
	v_mfma_f32_16x16x16_f16 a[152:155], a[108:109], v[86:87], a[152:155]// 00000000648C: D3CD8098 0E62AD6C
	v_mfma_f32_16x16x16_f16 a[156:159], a[110:111], v[86:87], a[156:159]// 000000006494: D3CD809C 0E72AD6E
	s_waitcnt vmcnt(8) lgkmcnt(4)                              // 00000000649C: BF8C0478
	s_barrier                                                  // 0000000064A0: BF8A0000
	v_mfma_f32_16x16x16_f16 v[148:151], v[52:53], a[24:25], 0  // 0000000064A4: D3CD0094 12023134
	v_mul_f32_e32 v140, s48, v140                              // 0000000064AC: 0B191830
	v_mul_f32_e32 v144, s48, v144                              // 0000000064B0: 0B212030
	s_nop 0                                                    // 0000000064B4: BF800000
	v_mfma_f32_16x16x16_f16 v[148:151], v[54:55], a[28:29], v[148:151]// 0000000064B8: D3CD0094 16523936
	ds_read_b128 a[96:99], v12                                 // 0000000064C0: DBFE0000 6000000C
	buffer_load_dword v40, v1, s[8:11], 0 idxen                // 0000000064C8: E0502000 80022801
	v_mfma_f32_16x16x16_f16 v[148:151], v[56:57], a[32:33], v[148:151]// 0000000064D0: D3CD0094 16524138
	v_mfma_f32_16x16x16_f16 v[148:151], v[58:59], a[36:37], v[148:151]// 0000000064D8: D3CD0094 1652493A
	ds_read_b128 a[100:103], v12 offset:512                    // 0000000064E0: DBFE0200 6400000C
	buffer_load_dword v41, v2, s[8:11], 0 idxen                // 0000000064E8: E0502000 80022902
	v_mfma_f32_16x16x16_f16 v[148:151], v[60:61], a[40:41], v[148:151]// 0000000064F0: D3CD0094 1652513C
	v_perm_b32 v100, v37, v36, s63                             // 0000000064F8: D1ED0064 00FE4925
	v_perm_b32 v101, v37, v36, s64                             // 000000006500: D1ED0065 01024925
	v_mfma_f32_16x16x16_f16 v[148:151], v[62:63], a[44:45], v[148:151]// 000000006508: D3CD0094 1652593E
	ds_read_b128 a[104:107], v12 offset:2176                   // 000000006510: DBFE0880 6800000C
	buffer_load_dword v42, v3, s[8:11], 0 idxen                // 000000006518: E0502000 80022A03
	v_mfma_f32_16x16x16_f16 v[148:151], v[64:65], a[48:49], v[148:151]// 000000006520: D3CD0094 16526140
	v_perm_b32 v102, v39, v38, s63                             // 000000006528: D1ED0066 00FE4D27
	v_perm_b32 v103, v39, v38, s64                             // 000000006530: D1ED0067 01024D27
	v_mfma_f32_16x16x16_f16 v[148:151], v[66:67], a[52:53], v[148:151]// 000000006538: D3CD0094 16526942
	ds_read_b128 a[108:111], v12 offset:2688                   // 000000006540: DBFE0A80 6C00000C
	buffer_load_dword v43, v4, s[8:11], 0 idxen                // 000000006548: E0502000 80022B04
	v_mfma_f32_16x16x16_f16 v[148:151], v[68:69], a[56:57], v[148:151]// 000000006550: D3CD0094 16527144
	v_perm_b32 v104, v45, v44, s63                             // 000000006558: D1ED0068 00FE592D
	v_perm_b32 v105, v45, v44, s64                             // 000000006560: D1ED0069 0102592D
	v_mfma_f32_16x16x16_f16 v[148:151], v[70:71], a[60:61], v[148:151]// 000000006568: D3CD0094 16527946
	ds_read_b128 v[108:111], v12 offset:8704                   // 000000006570: D9FE2200 6C00000C
	buffer_load_dword v48, v228, s[20:23], 0 idxen             // 000000006578: E0502000 800530E4
	v_mfma_f32_16x16x16_f16 v[148:151], v[72:73], a[64:65], v[148:151]// 000000006580: D3CD0094 16528148
	v_perm_b32 v106, v47, v46, s63                             // 000000006588: D1ED006A 00FE5D2F
	v_perm_b32 v107, v47, v46, s64                             // 000000006590: D1ED006B 01025D2F
	v_mfma_f32_16x16x16_f16 v[148:151], v[74:75], a[68:69], v[148:151]// 000000006598: D3CD0094 1652894A
	ds_read_b128 v[112:115], v12 offset:9216                   // 0000000065A0: D9FE2400 7000000C
	buffer_load_dword v49, v229, s[20:23], 0 idxen             // 0000000065A8: E0502000 800531E5
	v_mfma_f32_16x16x16_f16 v[152:155], v[52:53], a[26:27], 0  // 0000000065B0: D3CD0098 12023534
	v_mov_b32_dpp v143, v140 quad_perm:[3,3,3,3] row_mask:0xf bank_mask:0xf// 0000000065B8: 7F1E02FA FF00FF8C
	v_mov_b32_dpp v142, v140 quad_perm:[2,2,2,2] row_mask:0xf bank_mask:0xf// 0000000065C0: 7F1C02FA FF00AA8C
	v_mov_b32_dpp v141, v140 quad_perm:[1,1,1,1] row_mask:0xf bank_mask:0xf// 0000000065C8: 7F1A02FA FF00558C
	v_mov_b32_dpp v140, v140 quad_perm:[0,0,0,0] row_mask:0xf bank_mask:0xf// 0000000065D0: 7F1802FA FF00008C
	v_mfma_f32_16x16x16_f16 v[152:155], v[54:55], a[30:31], v[152:155]// 0000000065D8: D3CD0098 16623D36
	ds_read_b128 v[116:119], v12 offset:10880                  // 0000000065E0: D9FE2A80 7400000C
	buffer_load_dword v50, v230, s[20:23], 0 idxen             // 0000000065E8: E0502000 800532E6
	v_mfma_f32_16x16x16_f16 v[152:155], v[56:57], a[34:35], v[152:155]// 0000000065F0: D3CD0098 16624538
	v_mov_b32_dpp v147, v144 quad_perm:[3,3,3,3] row_mask:0xf bank_mask:0xf// 0000000065F8: 7F2602FA FF00FF90
	v_mov_b32_dpp v146, v144 quad_perm:[2,2,2,2] row_mask:0xf bank_mask:0xf// 000000006600: 7F2402FA FF00AA90
	v_mov_b32_dpp v145, v144 quad_perm:[1,1,1,1] row_mask:0xf bank_mask:0xf// 000000006608: 7F2202FA FF005590
	v_mov_b32_dpp v144, v144 quad_perm:[0,0,0,0] row_mask:0xf bank_mask:0xf// 000000006610: 7F2002FA FF000090
	s_add_u32 s60, 0x80, s59                                   // 000000006618: 803C3BFF 00000080
	v_mfma_f32_16x16x16_f16 v[152:155], v[58:59], a[38:39], v[152:155]// 000000006620: D3CD0098 16624D3A
	ds_read_b128 v[120:123], v12 offset:11392                  // 000000006628: D9FE2C80 7800000C
	buffer_load_dword v51, v231, s[20:23], 0 idxen             // 000000006630: E0502000 800533E7
	v_mfma_f32_16x16x16_f16 v[152:155], v[60:61], a[42:43], v[152:155]// 000000006638: D3CD0098 1662553C
	s_cmp_lt_u32 s60, s58                                      // 000000006640: BF0A3A3C
	s_cselect_b32 s68, s68, 0                                  // 000000006644: 85448044
	s_cselect_b32 s100, s100, 0                                // 000000006648: 85648064
	s_cselect_b32 s69, s69, 0                                  // 00000000664C: 85458045
	v_mfma_f32_16x16x16_f16 v[152:155], v[62:63], a[46:47], v[152:155]// 000000006650: D3CD0098 16625D3E
	buffer_load_dword v11, s[24:27], 0 idxen lds               // 000000006658: E0512000 8006000B
	v_mfma_f32_16x16x16_f16 v[152:155], v[64:65], a[50:51], v[152:155]// 000000006660: D3CD0098 16626540
	v_add_u32_e32 v1, s68, v1                                  // 000000006668: 68020244
	v_add_u32_e32 v2, s68, v2                                  // 00000000666C: 68040444
	v_add_u32_e32 v3, s68, v3                                  // 000000006670: 68060644
	v_add_u32_e32 v4, s68, v4                                  // 000000006674: 68080844
	v_mfma_f32_16x16x16_f16 v[152:155], v[66:67], a[54:55], v[152:155]// 000000006678: D3CD0098 16626D42
	v_add_u32_e32 v228, s100, v228                             // 000000006680: 69C9C864
	v_add_u32_e32 v229, s100, v229                             // 000000006684: 69CBCA64
	v_add_u32_e32 v230, s100, v230                             // 000000006688: 69CDCC64
	v_add_u32_e32 v231, s100, v231                             // 00000000668C: 69CFCE64
	v_mfma_f32_16x16x16_f16 v[152:155], v[68:69], a[58:59], v[152:155]// 000000006690: D3CD0098 16627544
	s_mov_b32 m0, s78                                          // 000000006698: BEFC004E
	v_add_u32_e32 v11, s69, v11                                // 00000000669C: 68161645
	v_mfma_f32_16x16x16_f16 v[152:155], v[70:71], a[62:63], v[152:155]// 0000000066A0: D3CD0098 16627D46
	s_cmp_ge_u32 s59, s73                                      // 0000000066A8: BF09493B
	s_cselect_b32 s66, s67, s66                                // 0000000066AC: 85424243
	v_mfma_f32_16x16x16_f16 v[152:155], v[72:73], a[66:67], v[152:155]// 0000000066B0: D3CD0098 16628548
	s_addk_i32 s59, 0x20                                       // 0000000066B8: B73B0020
	s_nop 0                                                    // 0000000066BC: BF800000
	s_cmp_lt_i32 s59, s58                                      // 0000000066C0: BF043A3B
	v_mfma_f32_16x16x16_f16 v[152:155], v[74:75], a[70:71], v[152:155]// 0000000066C4: D3CD0098 16628D4A
	s_cbranch_scc0 label_0E0B                                  // 0000000066CC: BF8403C5
	s_waitcnt lgkmcnt(4)                                       // 0000000066D0: BF8CC47F
	s_barrier                                                  // 0000000066D4: BF8A0000
	v_mfma_f32_16x16x16_f16 v[52:55], a[96:97], a[0:1], 0      // 0000000066D8: D3CD0034 1A020160
	ds_write_b32 v13, v44 offset:8704                          // 0000000066E0: D81A2200 00002C0D
	ds_write_b32 v13, v45 offset:9760                          // 0000000066E8: D81A2620 00002D0D
	v_mfma_f32_16x16x16_f16 v[52:55], a[98:99], a[2:3], v[52:55]// 0000000066F0: D3CD0034 1CD20562
	v_mul_f32_e32 v148, s47, v148                              // 0000000066F8: 0B29282F
	v_mul_f32_e32 v149, s47, v149                              // 0000000066FC: 0B2B2A2F
	v_mfma_f32_16x16x16_f16 v[52:55], a[100:101], a[4:5], v[52:55]// 000000006700: D3CD0034 1CD20964
	ds_write_b32 v13, v46 offset:10880                         // 000000006708: D81A2A80 00002E0D
	ds_write_b32 v13, v47 offset:11936                         // 000000006710: D81A2EA0 00002F0D
	v_mfma_f32_16x16x16_f16 v[52:55], a[102:103], a[6:7], v[52:55]// 000000006718: D3CD0034 1CD20D66
	v_mul_f32_e32 v150, s47, v150                              // 000000006720: 0B2D2C2F
	v_mul_f32_e32 v151, s47, v151                              // 000000006724: 0B2F2E2F
	v_mfma_f32_16x16x16_f16 v[56:59], a[96:97], a[8:9], 0      // 000000006728: D3CD0038 1A021160
	ds_write_b64 v22, v[148:149] offset:31232                  // 000000006730: D89A7A00 00009416
	v_mfma_f32_16x16x16_f16 v[56:59], a[98:99], a[10:11], v[56:59]// 000000006738: D3CD0038 1CE21562
	v_mul_f32_e32 v152, s47, v152                              // 000000006740: 0B31302F
	v_mul_f32_e32 v153, s47, v153                              // 000000006744: 0B33322F
	v_mfma_f32_16x16x16_f16 v[56:59], a[100:101], a[12:13], v[56:59]// 000000006748: D3CD0038 1CE21964
	ds_write_b64 v22, v[150:151] offset:31744                  // 000000006750: D89A7C00 00009616
	v_mfma_f32_16x16x16_f16 v[56:59], a[102:103], a[14:15], v[56:59]// 000000006758: D3CD0038 1CE21D66
	v_mul_f32_e32 v154, s47, v154                              // 000000006760: 0B35342F
	v_mul_f32_e32 v155, s47, v155                              // 000000006764: 0B37362F
	v_mfma_f32_16x16x16_f16 v[60:63], a[96:97], a[16:17], 0    // 000000006768: D3CD003C 1A022160
	ds_write_b64 v22, v[152:153] offset:32256                  // 000000006770: D89A7E00 00009816
	v_mfma_f32_16x16x16_f16 v[60:63], a[98:99], a[18:19], v[60:63]// 000000006778: D3CD003C 1CF22562
	buffer_atomic_add_f32 v160, v8, s[32:35], 0 idxen          // 000000006780: E1342000 8008A008
	v_mfma_f32_16x16x16_f16 v[60:63], a[100:101], a[20:21], v[60:63]// 000000006788: D3CD003C 1CF22964
	ds_write_b64 v22, v[154:155] offset:32768                  // 000000006790: D89A8000 00009A16
	v_mfma_f32_16x16x16_f16 v[60:63], a[102:103], a[22:23], v[60:63]// 000000006798: D3CD003C 1CF22D66
	v_mfma_f32_16x16x16_f16 v[64:67], a[104:105], a[0:1], 0    // 0000000067A0: D3CD0040 1A020168
	ds_read_b128 v[124:127], v14 offset:13056                  // 0000000067A8: D9FE3300 7C00000E
	ds_write_b32 v13, v36                                      // 0000000067B0: D81A0000 0000240D
	v_mfma_f32_16x16x16_f16 v[64:67], a[106:107], a[2:3], v[64:67]// 0000000067B8: D3CD0040 1D02056A
	buffer_atomic_add_f32 v161, v9, s[32:35], 0 idxen          // 0000000067C0: E1342000 8008A109
	v_mfma_f32_16x16x16_f16 v[64:67], a[108:109], a[4:5], v[64:67]// 0000000067C8: D3CD0040 1D02096C
	v_mfma_f32_16x16x16_f16 v[64:67], a[110:111], a[6:7], v[64:67]// 0000000067D0: D3CD0040 1D020D6E
	ds_read_b128 v[128:131], v14 offset:13568                  // 0000000067D8: D9FE3500 8000000E
	ds_write_b32 v13, v37 offset:1056                          // 0000000067E0: D81A0420 0000250D
	v_mfma_f32_16x16x16_f16 v[68:71], a[104:105], a[8:9], 0    // 0000000067E8: D3CD0044 1A021168
	buffer_atomic_add_f32 v162, v8, s[32:35], 0 idxen offset:128// 0000000067F0: E1342080 8008A208
	v_mfma_f32_16x16x16_f16 v[68:71], a[106:107], a[10:11], v[68:71]// 0000000067F8: D3CD0044 1D12156A
	v_mfma_f32_16x16x16_f16 v[68:71], a[108:109], a[12:13], v[68:71]// 000000006800: D3CD0044 1D12196C
	ds_read_b128 v[132:135], v14 offset:15232                  // 000000006808: D9FE3B80 8400000E
	ds_write_b32 v13, v38 offset:2176                          // 000000006810: D81A0880 0000260D
	v_mfma_f32_16x16x16_f16 v[68:71], a[110:111], a[14:15], v[68:71]// 000000006818: D3CD0044 1D121D6E
	v_mfma_f32_16x16x16_f16 v[72:75], a[104:105], a[16:17], 0  // 000000006820: D3CD0048 1A022168
	buffer_atomic_add_f32 v163, v9, s[32:35], 0 idxen offset:128// 000000006828: E1342080 8008A309
	v_mfma_f32_16x16x16_f16 v[72:75], a[106:107], a[18:19], v[72:75]// 000000006830: D3CD0048 1D22256A
	ds_read_b128 v[136:139], v14 offset:15744                  // 000000006838: D9FE3D80 8800000E
	ds_write_b32 v13, v39 offset:3232                          // 000000006840: D81A0CA0 0000270D
	v_mfma_f32_16x16x16_f16 v[72:75], a[108:109], a[20:21], v[72:75]// 000000006848: D3CD0048 1D22296C
	v_mfma_f32_16x16x16_f16 v[72:75], a[110:111], a[22:23], v[72:75]// 000000006850: D3CD0048 1D222D6E
	s_cmp_eq_i32 s80, 0                                        // 000000006858: BF008050
	s_cbranch_scc1 label_0B9A                                  // 00000000685C: BF8500F0
	s_cmp_lt_i32 s74, 6                                        // 000000006860: BF04864A
	s_cbranch_scc0 label_0B21                                  // 000000006864: BF84007E
	s_lshl_b32 s60, s74, 5                                     // 000000006868: 8E3C854A
	s_lshl_b32 s61, 0, 4                                       // 00000000686C: 8E3D8480
	s_add_i32 s60, s60, s61                                    // 000000006870: 813C3D3C
	v_sub_i32 v32, v232, s60                                   // 000000006874: D29D0020 000079E8
	s_mov_b32 s61, 0                                           // 00000000687C: BEBD0080
	v_add_i32 v33, v32, s61                                    // 000000006880: D29C0021 00007B20
	v_cmp_gt_i32_e64 s[70:71], v33, 0                          // 000000006888: D0C40046 00010121
	v_cmp_gt_i32_e64 s[82:83], v33, 1                          // 000000006890: D0C40052 00010321
	v_cndmask_b32_e64 v52, v52, v178, s[70:71]                 // 000000006898: D1000034 011B6534
	v_cndmask_b32_e64 v53, v53, v178, s[82:83]                 // 0000000068A0: D1000035 014B6535
	v_cmp_gt_i32_e64 s[70:71], v33, 2                          // 0000000068A8: D0C40046 00010521
	v_cmp_gt_i32_e64 s[82:83], v33, 3                          // 0000000068B0: D0C40052 00010721
	v_cndmask_b32_e64 v54, v54, v178, s[70:71]                 // 0000000068B8: D1000036 011B6536
	v_cndmask_b32_e64 v55, v55, v178, s[82:83]                 // 0000000068C0: D1000037 014B6537
	s_mov_b32 s61, 64                                          // 0000000068C8: BEBD00C0
	v_add_i32 v33, v32, s61                                    // 0000000068CC: D29C0021 00007B20
	v_cmp_gt_i32_e64 s[70:71], v33, 0                          // 0000000068D4: D0C40046 00010121
	v_cmp_gt_i32_e64 s[82:83], v33, 1                          // 0000000068DC: D0C40052 00010321
	v_cndmask_b32_e64 v56, v56, v178, s[70:71]                 // 0000000068E4: D1000038 011B6538
	v_cndmask_b32_e64 v57, v57, v178, s[82:83]                 // 0000000068EC: D1000039 014B6539
	v_cmp_gt_i32_e64 s[70:71], v33, 2                          // 0000000068F4: D0C40046 00010521
	v_cmp_gt_i32_e64 s[82:83], v33, 3                          // 0000000068FC: D0C40052 00010721
	v_cndmask_b32_e64 v58, v58, v178, s[70:71]                 // 000000006904: D100003A 011B653A
	v_cndmask_b32_e64 v59, v59, v178, s[82:83]                 // 00000000690C: D100003B 014B653B
	s_mov_b32 s61, 0x80                                        // 000000006914: BEBD00FF 00000080
	v_add_i32 v33, v32, s61                                    // 00000000691C: D29C0021 00007B20
	v_cmp_gt_i32_e64 s[70:71], v33, 0                          // 000000006924: D0C40046 00010121
	v_cmp_gt_i32_e64 s[82:83], v33, 1                          // 00000000692C: D0C40052 00010321
	v_cndmask_b32_e64 v60, v60, v178, s[70:71]                 // 000000006934: D100003C 011B653C
	v_cndmask_b32_e64 v61, v61, v178, s[82:83]                 // 00000000693C: D100003D 014B653D
	v_cmp_gt_i32_e64 s[70:71], v33, 2                          // 000000006944: D0C40046 00010521
	v_cmp_gt_i32_e64 s[82:83], v33, 3                          // 00000000694C: D0C40052 00010721
	v_cndmask_b32_e64 v62, v62, v178, s[70:71]                 // 000000006954: D100003E 011B653E
	v_cndmask_b32_e64 v63, v63, v178, s[82:83]                 // 00000000695C: D100003F 014B653F
	s_lshl_b32 s60, s74, 5                                     // 000000006964: 8E3C854A
	s_lshl_b32 s61, 1, 4                                       // 000000006968: 8E3D8481
	s_add_i32 s60, s60, s61                                    // 00000000696C: 813C3D3C
	v_sub_i32 v32, v232, s60                                   // 000000006970: D29D0020 000079E8
	s_mov_b32 s61, 0                                           // 000000006978: BEBD0080
	v_add_i32 v33, v32, s61                                    // 00000000697C: D29C0021 00007B20
	v_cmp_gt_i32_e64 s[70:71], v33, 0                          // 000000006984: D0C40046 00010121
	v_cmp_gt_i32_e64 s[82:83], v33, 1                          // 00000000698C: D0C40052 00010321
	v_cndmask_b32_e64 v64, v64, v178, s[70:71]                 // 000000006994: D1000040 011B6540
	v_cndmask_b32_e64 v65, v65, v178, s[82:83]                 // 00000000699C: D1000041 014B6541
	v_cmp_gt_i32_e64 s[70:71], v33, 2                          // 0000000069A4: D0C40046 00010521
	v_cmp_gt_i32_e64 s[82:83], v33, 3                          // 0000000069AC: D0C40052 00010721
	v_cndmask_b32_e64 v66, v66, v178, s[70:71]                 // 0000000069B4: D1000042 011B6542
	v_cndmask_b32_e64 v67, v67, v178, s[82:83]                 // 0000000069BC: D1000043 014B6543
	s_mov_b32 s61, 64                                          // 0000000069C4: BEBD00C0
	v_add_i32 v33, v32, s61                                    // 0000000069C8: D29C0021 00007B20
	v_cmp_gt_i32_e64 s[70:71], v33, 0                          // 0000000069D0: D0C40046 00010121
	v_cmp_gt_i32_e64 s[82:83], v33, 1                          // 0000000069D8: D0C40052 00010321
	v_cndmask_b32_e64 v68, v68, v178, s[70:71]                 // 0000000069E0: D1000044 011B6544
	v_cndmask_b32_e64 v69, v69, v178, s[82:83]                 // 0000000069E8: D1000045 014B6545
	v_cmp_gt_i32_e64 s[70:71], v33, 2                          // 0000000069F0: D0C40046 00010521
	v_cmp_gt_i32_e64 s[82:83], v33, 3                          // 0000000069F8: D0C40052 00010721
	v_cndmask_b32_e64 v70, v70, v178, s[70:71]                 // 000000006A00: D1000046 011B6546
	v_cndmask_b32_e64 v71, v71, v178, s[82:83]                 // 000000006A08: D1000047 014B6547
	s_mov_b32 s61, 0x80                                        // 000000006A10: BEBD00FF 00000080
	v_add_i32 v33, v32, s61                                    // 000000006A18: D29C0021 00007B20
	v_cmp_gt_i32_e64 s[70:71], v33, 0                          // 000000006A20: D0C40046 00010121
	v_cmp_gt_i32_e64 s[82:83], v33, 1                          // 000000006A28: D0C40052 00010321
	v_cndmask_b32_e64 v72, v72, v178, s[70:71]                 // 000000006A30: D1000048 011B6548
	v_cndmask_b32_e64 v73, v73, v178, s[82:83]                 // 000000006A38: D1000049 014B6549
	v_cmp_gt_i32_e64 s[70:71], v33, 2                          // 000000006A40: D0C40046 00010521
	v_cmp_gt_i32_e64 s[82:83], v33, 3                          // 000000006A48: D0C40052 00010721
	v_cndmask_b32_e64 v74, v74, v178, s[70:71]                 // 000000006A50: D100004A 011B654A
	v_cndmask_b32_e64 v75, v75, v178, s[82:83]                 // 000000006A58: D100004B 014B654B

0000000000006a60 <label_0B21>:
	s_cmp_lt_i32 s84, 0xc0                                     // 000000006A60: BF04FF54 000000C0
	s_cbranch_scc0 label_0B9A                                  // 000000006A68: BF84006D
	s_cmp_le_i32 s84, 64                                       // 000000006A6C: BF05C054
	s_cbranch_scc1 label_0B2D                                  // 000000006A70: BF850007
	s_cmp_le_i32 s84, 0x80                                     // 000000006A74: BF05FF54 00000080
	s_cbranch_scc1 label_0B51                                  // 000000006A7C: BF85001F
	s_cmp_lt_i32 s84, 0xc0                                     // 000000006A80: BF04FF54 000000C0
	s_cbranch_scc1 label_0B75                                  // 000000006A88: BF850040
	s_branch label_0B9A                                        // 000000006A8C: BF820064

0000000000006a90 <label_0B2D>:
	s_mov_b32 s60, 0                                           // 000000006A90: BEBC0080
	v_and_b32_e32 v32, 15, v0                                  // 000000006A94: 2640008F
	v_add_u32_e64 v32, v32, s60                                // 000000006A98: D1340020 00007920
	v_mul_i32_i24_e64 v33, s46, 16                             // 000000006AA0: D1060021 0001202E
	v_add_u32_e32 v32, v32, v33                                // 000000006AA8: 68404320
	v_cmp_lt_u32_e64 s[60:61], v32, s84                        // 000000006AAC: D0C9003C 0000A920
	s_nop 1                                                    // 000000006AB4: BF800001
	v_cndmask_b32_e64 v52, v178, v52, s[60:61]                 // 000000006AB8: D1000034 00F269B2
	v_cndmask_b32_e64 v64, v178, v64, s[60:61]                 // 000000006AC0: D1000040 00F281B2
	v_cndmask_b32_e64 v53, v178, v53, s[60:61]                 // 000000006AC8: D1000035 00F26BB2
	v_cndmask_b32_e64 v65, v178, v65, s[60:61]                 // 000000006AD0: D1000041 00F283B2
	v_cndmask_b32_e64 v54, v178, v54, s[60:61]                 // 000000006AD8: D1000036 00F26DB2
	v_cndmask_b32_e64 v66, v178, v66, s[60:61]                 // 000000006AE0: D1000042 00F285B2
	v_cndmask_b32_e64 v55, v178, v55, s[60:61]                 // 000000006AE8: D1000037 00F26FB2
	v_cndmask_b32_e64 v67, v178, v67, s[60:61]                 // 000000006AF0: D1000043 00F287B2
	s_branch label_0B6C                                        // 000000006AF8: BF82001B

0000000000006afc <label_0B51>:
	s_mov_b32 s60, 64                                          // 000000006AFC: BEBC00C0
	v_and_b32_e32 v32, 15, v0                                  // 000000006B00: 2640008F
	v_add_u32_e64 v32, v32, s60                                // 000000006B04: D1340020 00007920
	v_mul_i32_i24_e64 v33, s46, 16                             // 000000006B0C: D1060021 0001202E
	v_add_u32_e32 v32, v32, v33                                // 000000006B14: 68404320
	v_cmp_lt_u32_e64 s[60:61], v32, s84                        // 000000006B18: D0C9003C 0000A920
	s_nop 1                                                    // 000000006B20: BF800001
	v_cndmask_b32_e64 v56, v178, v56, s[60:61]                 // 000000006B24: D1000038 00F271B2
	v_cndmask_b32_e64 v68, v178, v68, s[60:61]                 // 000000006B2C: D1000044 00F289B2
	v_cndmask_b32_e64 v57, v178, v57, s[60:61]                 // 000000006B34: D1000039 00F273B2
	v_cndmask_b32_e64 v69, v178, v69, s[60:61]                 // 000000006B3C: D1000045 00F28BB2
	v_cndmask_b32_e64 v58, v178, v58, s[60:61]                 // 000000006B44: D100003A 00F275B2
	v_cndmask_b32_e64 v70, v178, v70, s[60:61]                 // 000000006B4C: D1000046 00F28DB2
	v_cndmask_b32_e64 v59, v178, v59, s[60:61]                 // 000000006B54: D100003B 00F277B2
	v_cndmask_b32_e64 v71, v178, v71, s[60:61]                 // 000000006B5C: D1000047 00F28FB2
	s_branch label_0B91                                        // 000000006B64: BF820025

0000000000006b68 <label_0B6C>:
	v_mov_b32_e32 v56, v178                                    // 000000006B68: 7E7003B2
	v_mov_b32_e32 v68, v178                                    // 000000006B6C: 7E8803B2
	v_mov_b32_e32 v57, v178                                    // 000000006B70: 7E7203B2
	v_mov_b32_e32 v69, v178                                    // 000000006B74: 7E8A03B2
	v_mov_b32_e32 v58, v178                                    // 000000006B78: 7E7403B2
	v_mov_b32_e32 v70, v178                                    // 000000006B7C: 7E8C03B2
	v_mov_b32_e32 v59, v178                                    // 000000006B80: 7E7603B2
	v_mov_b32_e32 v71, v178                                    // 000000006B84: 7E8E03B2
	s_branch label_0B91                                        // 000000006B88: BF82001C

0000000000006b8c <label_0B75>:
	s_mov_b32 s60, 0x80                                        // 000000006B8C: BEBC00FF 00000080
	v_and_b32_e32 v32, 15, v0                                  // 000000006B94: 2640008F
	v_add_u32_e64 v32, v32, s60                                // 000000006B98: D1340020 00007920
	v_mul_i32_i24_e64 v33, s46, 16                             // 000000006BA0: D1060021 0001202E
	v_add_u32_e32 v32, v32, v33                                // 000000006BA8: 68404320
	v_cmp_lt_u32_e64 s[60:61], v32, s84                        // 000000006BAC: D0C9003C 0000A920
	s_nop 1                                                    // 000000006BB4: BF800001
	v_cndmask_b32_e64 v60, v178, v60, s[60:61]                 // 000000006BB8: D100003C 00F279B2
	v_cndmask_b32_e64 v72, v178, v72, s[60:61]                 // 000000006BC0: D1000048 00F291B2
	v_cndmask_b32_e64 v61, v178, v61, s[60:61]                 // 000000006BC8: D100003D 00F27BB2
	v_cndmask_b32_e64 v73, v178, v73, s[60:61]                 // 000000006BD0: D1000049 00F293B2
	v_cndmask_b32_e64 v62, v178, v62, s[60:61]                 // 000000006BD8: D100003E 00F27DB2
	v_cndmask_b32_e64 v74, v178, v74, s[60:61]                 // 000000006BE0: D100004A 00F295B2
	v_cndmask_b32_e64 v63, v178, v63, s[60:61]                 // 000000006BE8: D100003F 00F27FB2
	v_cndmask_b32_e64 v75, v178, v75, s[60:61]                 // 000000006BF0: D100004B 00F297B2
	s_branch label_0B9A                                        // 000000006BF8: BF820009

0000000000006bfc <label_0B91>:
	v_mov_b32_e32 v60, v178                                    // 000000006BFC: 7E7803B2
	v_mov_b32_e32 v72, v178                                    // 000000006C00: 7E9003B2
	v_mov_b32_e32 v61, v178                                    // 000000006C04: 7E7A03B2
	v_mov_b32_e32 v73, v178                                    // 000000006C08: 7E9203B2
	v_mov_b32_e32 v62, v178                                    // 000000006C0C: 7E7C03B2
	v_mov_b32_e32 v74, v178                                    // 000000006C10: 7E9403B2
	v_mov_b32_e32 v63, v178                                    // 000000006C14: 7E7E03B2
	v_mov_b32_e32 v75, v178                                    // 000000006C18: 7E9603B2
	s_branch label_0B9A                                        // 000000006C1C: BF820000

0000000000006c20 <label_0B9A>:
	s_addk_i32 s74, 0x1                                        // 000000006C20: B74A0001
	s_waitcnt lgkmcnt(8)                                       // 000000006C24: BF8CC87F
	s_barrier                                                  // 000000006C28: BF8A0000
	v_mfma_f32_16x16x16_f16 v[76:79], v[108:109], a[72:73], 0  // 000000006C2C: D3CD004C 1202916C
	ds_read_b128 a[96:99], v14 offset:4352                     // 000000006C34: DBFE1100 6000000E
	ds_read_b128 a[100:103], v14 offset:4864                   // 000000006C3C: DBFE1300 6400000E
	v_mfma_f32_16x16x16_f16 v[76:79], v[110:111], a[74:75], v[76:79]// 000000006C44: D3CD004C 1532956E
	v_fma_f32 v52, v52, s57, -v140                             // 000000006C4C: D1CB0034 86307334
	v_fma_f32 v53, v53, s57, -v141                             // 000000006C54: D1CB0035 86347335
	v_fma_f32 v54, v54, s57, -v142                             // 000000006C5C: D1CB0036 86387336
	v_fma_f32 v55, v55, s57, -v143                             // 000000006C64: D1CB0037 863C7337
	v_fma_f32 v56, v56, s57, -v140                             // 000000006C6C: D1CB0038 86307338
	v_fma_f32 v57, v57, s57, -v141                             // 000000006C74: D1CB0039 86347339
	v_mfma_f32_16x16x16_f16 v[76:79], v[112:113], a[76:77], v[76:79]// 000000006C7C: D3CD004C 15329970
	v_fma_f32 v58, v58, s57, -v142                             // 000000006C84: D1CB003A 8638733A
	v_fma_f32 v59, v59, s57, -v143                             // 000000006C8C: D1CB003B 863C733B
	v_fma_f32 v60, v60, s57, -v140                             // 000000006C94: D1CB003C 8630733C
	v_fma_f32 v61, v61, s57, -v141                             // 000000006C9C: D1CB003D 8634733D
	v_fma_f32 v62, v62, s57, -v142                             // 000000006CA4: D1CB003E 8638733E
	v_fma_f32 v63, v63, s57, -v143                             // 000000006CAC: D1CB003F 863C733F
	v_mfma_f32_16x16x16_f16 v[76:79], v[114:115], a[78:79], v[76:79]// 000000006CB4: D3CD004C 15329D72
	v_fma_f32 v64, v64, s57, -v144                             // 000000006CBC: D1CB0040 86407340
	v_fma_f32 v65, v65, s57, -v145                             // 000000006CC4: D1CB0041 86447341
	v_fma_f32 v66, v66, s57, -v146                             // 000000006CCC: D1CB0042 86487342
	v_fma_f32 v67, v67, s57, -v147                             // 000000006CD4: D1CB0043 864C7343
	v_fma_f32 v68, v68, s57, -v144                             // 000000006CDC: D1CB0044 86407344
	v_fma_f32 v69, v69, s57, -v145                             // 000000006CE4: D1CB0045 86447345
	v_mfma_f32_16x16x16_f16 v[80:83], v[108:109], a[80:81], 0  // 000000006CEC: D3CD0050 1202A16C
	ds_read_b128 a[104:107], v14 offset:6528                   // 000000006CF4: DBFE1980 6800000E
	ds_read_b128 a[108:111], v14 offset:7040                   // 000000006CFC: DBFE1B80 6C00000E
	v_mfma_f32_16x16x16_f16 v[80:83], v[110:111], a[82:83], v[80:83]// 000000006D04: D3CD0050 1542A56E
	v_fma_f32 v70, v70, s57, -v146                             // 000000006D0C: D1CB0046 86487346
	v_fma_f32 v71, v71, s57, -v147                             // 000000006D14: D1CB0047 864C7347
	v_fma_f32 v72, v72, s57, -v144                             // 000000006D1C: D1CB0048 86407348
	v_fma_f32 v73, v73, s57, -v145                             // 000000006D24: D1CB0049 86447349
	v_fma_f32 v74, v74, s57, -v146                             // 000000006D2C: D1CB004A 8648734A
	v_fma_f32 v75, v75, s57, -v147                             // 000000006D34: D1CB004B 864C734B
	v_mfma_f32_16x16x16_f16 v[80:83], v[112:113], a[84:85], v[80:83]// 000000006D3C: D3CD0050 1542A970
	v_exp_f32_e32 v52, v52                                     // 000000006D44: 7E684134
	v_exp_f32_e32 v53, v53                                     // 000000006D48: 7E6A4135
	v_mfma_f32_16x16x16_f16 v[80:83], v[114:115], a[86:87], v[80:83]// 000000006D4C: D3CD0050 1542AD72
	v_exp_f32_e32 v54, v54                                     // 000000006D54: 7E6C4136
	v_exp_f32_e32 v55, v55                                     // 000000006D58: 7E6E4137
	v_mfma_f32_16x16x16_f16 v[84:87], v[108:109], a[88:89], 0  // 000000006D5C: D3CD0054 1202B16C
	ds_read_b64 v[156:157], v21 offset:31232                   // 000000006D64: D8EC7A00 9C000015
	ds_read_b64 v[158:159], v21 offset:33280                   // 000000006D6C: D8EC8200 9E000015
	v_mfma_f32_16x16x16_f16 v[84:87], v[110:111], a[90:91], v[84:87]// 000000006D74: D3CD0054 1552B56E
	v_exp_f32_e32 v56, v56                                     // 000000006D7C: 7E704138
	v_exp_f32_e32 v57, v57                                     // 000000006D80: 7E724139
	v_mfma_f32_16x16x16_f16 v[84:87], v[112:113], a[92:93], v[84:87]// 000000006D84: D3CD0054 1552B970
	ds_read_b64 v[160:161], v21 offset:35328                   // 000000006D8C: D8EC8A00 A0000015
	ds_read_b64 v[162:163], v21 offset:37376                   // 000000006D94: D8EC9200 A2000015
	v_mfma_f32_16x16x16_f16 v[84:87], v[114:115], a[94:95], v[84:87]// 000000006D9C: D3CD0054 1552BD72
	v_exp_f32_e32 v58, v58                                     // 000000006DA4: 7E74413A
	v_exp_f32_e32 v59, v59                                     // 000000006DA8: 7E76413B
	v_mfma_f32_16x16x16_f16 v[88:91], v[116:117], a[72:73], 0  // 000000006DAC: D3CD0058 12029174
	v_exp_f32_e32 v60, v60                                     // 000000006DB4: 7E78413C
	v_exp_f32_e32 v61, v61                                     // 000000006DB8: 7E7A413D
	v_mfma_f32_16x16x16_f16 v[88:91], v[118:119], a[74:75], v[88:91]// 000000006DBC: D3CD0058 15629576
	v_exp_f32_e32 v62, v62                                     // 000000006DC4: 7E7C413E
	v_exp_f32_e32 v63, v63                                     // 000000006DC8: 7E7E413F
	v_mfma_f32_16x16x16_f16 v[88:91], v[120:121], a[76:77], v[88:91]// 000000006DCC: D3CD0058 15629978
	v_exp_f32_e32 v64, v64                                     // 000000006DD4: 7E804140
	v_exp_f32_e32 v65, v65                                     // 000000006DD8: 7E824141
	v_mfma_f32_16x16x16_f16 v[88:91], v[122:123], a[78:79], v[88:91]// 000000006DDC: D3CD0058 15629D7A
	v_exp_f32_e32 v66, v66                                     // 000000006DE4: 7E844142
	v_exp_f32_e32 v67, v67                                     // 000000006DE8: 7E864143
	v_mfma_f32_16x16x16_f16 v[92:95], v[116:117], a[80:81], 0  // 000000006DEC: D3CD005C 1202A174
	v_exp_f32_e32 v68, v68                                     // 000000006DF4: 7E884144
	v_exp_f32_e32 v69, v69                                     // 000000006DF8: 7E8A4145
	v_mfma_f32_16x16x16_f16 v[92:95], v[118:119], a[82:83], v[92:95]// 000000006DFC: D3CD005C 1572A576
	v_exp_f32_e32 v70, v70                                     // 000000006E04: 7E8C4146
	v_exp_f32_e32 v71, v71                                     // 000000006E08: 7E8E4147
	v_mfma_f32_16x16x16_f16 v[92:95], v[120:121], a[84:85], v[92:95]// 000000006E0C: D3CD005C 1572A978
	v_exp_f32_e32 v72, v72                                     // 000000006E14: 7E904148
	v_exp_f32_e32 v73, v73                                     // 000000006E18: 7E924149
	v_mfma_f32_16x16x16_f16 v[92:95], v[122:123], a[86:87], v[92:95]// 000000006E1C: D3CD005C 1572AD7A
	v_exp_f32_e32 v74, v74                                     // 000000006E24: 7E94414A
	v_exp_f32_e32 v75, v75                                     // 000000006E28: 7E96414B
	v_mfma_f32_16x16x16_f16 v[96:99], v[116:117], a[88:89], 0  // 000000006E2C: D3CD0060 1202B174
	v_cvt_pkrtz_f16_f32 v164, v52, v53                         // 000000006E34: D29600A4 00026B34
	v_cvt_pkrtz_f16_f32 v165, v54, v55                         // 000000006E3C: D29600A5 00026F36
	v_cvt_pkrtz_f16_f32 v166, v56, v57                         // 000000006E44: D29600A6 00027338
	v_cvt_pkrtz_f16_f32 v167, v58, v59                         // 000000006E4C: D29600A7 0002773A
	v_cvt_pkrtz_f16_f32 v168, v60, v61                         // 000000006E54: D29600A8 00027B3C
	v_cvt_pkrtz_f16_f32 v169, v62, v63                         // 000000006E5C: D29600A9 00027F3E
	v_mfma_f32_16x16x16_f16 v[96:99], v[118:119], a[90:91], v[96:99]// 000000006E64: D3CD0060 1582B576
	v_cvt_pkrtz_f16_f32 v170, v64, v65                         // 000000006E6C: D29600AA 00028340
	v_cvt_pkrtz_f16_f32 v171, v66, v67                         // 000000006E74: D29600AB 00028742
	v_cvt_pkrtz_f16_f32 v172, v68, v69                         // 000000006E7C: D29600AC 00028B44
	v_cvt_pkrtz_f16_f32 v173, v70, v71                         // 000000006E84: D29600AD 00028F46
	v_cvt_pkrtz_f16_f32 v174, v72, v73                         // 000000006E8C: D29600AE 00029348
	v_cvt_pkrtz_f16_f32 v175, v74, v75                         // 000000006E94: D29600AF 0002974A
	v_mfma_f32_16x16x16_f16 v[96:99], v[120:121], a[92:93], v[96:99]// 000000006E9C: D3CD0060 1582B978
	v_add_u32_e32 v6, s66, v6                                  // 000000006EA4: 680C0C42
	v_add_u32_e32 v7, s66, v7                                  // 000000006EA8: 680E0E42
	v_add_u32_e32 v8, s66, v8                                  // 000000006EAC: 68101042
	v_add_u32_e32 v9, s66, v9                                  // 000000006EB0: 68121242
	v_mfma_f32_16x16x16_f16 v[96:99], v[122:123], a[94:95], v[96:99]// 000000006EB4: D3CD0060 1582BD7A
	s_waitcnt lgkmcnt(0)                                       // 000000006EBC: BF8CC07F
	s_barrier                                                  // 000000006EC0: BF8A0000
	v_mfma_f32_16x16x16_f16 v[180:183], v[124:125], v[164:165], v[180:183]// 000000006EC4: D3CD00B4 06D3497C
	v_subrev_f32_dpp v76, v176, v76 quad_perm:[0,0,0,0] row_mask:0xf bank_mask:0xf// 000000006ECC: 069898FA FF0000B0
	v_subrev_f32_dpp v77, v176, v77 quad_perm:[1,1,1,1] row_mask:0xf bank_mask:0xf// 000000006ED4: 069A9AFA FF0055B0
	v_subrev_f32_dpp v78, v176, v78 quad_perm:[2,2,2,2] row_mask:0xf bank_mask:0xf// 000000006EDC: 069C9CFA FF00AAB0
	v_subrev_f32_dpp v79, v176, v79 quad_perm:[3,3,3,3] row_mask:0xf bank_mask:0xf// 000000006EE4: 069E9EFA FF00FFB0
	v_subrev_f32_dpp v80, v176, v80 quad_perm:[0,0,0,0] row_mask:0xf bank_mask:0xf// 000000006EEC: 06A0A0FA FF0000B0
	v_subrev_f32_dpp v81, v176, v81 quad_perm:[1,1,1,1] row_mask:0xf bank_mask:0xf// 000000006EF4: 06A2A2FA FF0055B0
	v_mfma_f32_16x16x16_f16 v[184:187], v[126:127], v[164:165], v[184:187]// 000000006EFC: D3CD00B8 06E3497E
	v_subrev_f32_dpp v82, v176, v82 quad_perm:[2,2,2,2] row_mask:0xf bank_mask:0xf// 000000006F04: 06A4A4FA FF00AAB0
	v_subrev_f32_dpp v83, v176, v83 quad_perm:[3,3,3,3] row_mask:0xf bank_mask:0xf// 000000006F0C: 06A6A6FA FF00FFB0
	v_subrev_f32_dpp v84, v176, v84 quad_perm:[0,0,0,0] row_mask:0xf bank_mask:0xf// 000000006F14: 06A8A8FA FF0000B0
	v_subrev_f32_dpp v85, v176, v85 quad_perm:[1,1,1,1] row_mask:0xf bank_mask:0xf// 000000006F1C: 06AAAAFA FF0055B0
	v_subrev_f32_dpp v86, v176, v86 quad_perm:[2,2,2,2] row_mask:0xf bank_mask:0xf// 000000006F24: 06ACACFA FF00AAB0
	v_subrev_f32_dpp v87, v176, v87 quad_perm:[3,3,3,3] row_mask:0xf bank_mask:0xf// 000000006F2C: 06AEAEFA FF00FFB0
	v_mfma_f32_16x16x16_f16 v[188:191], v[128:129], v[164:165], v[188:191]// 000000006F34: D3CD00BC 06F34980
	v_mul_f32_e32 v76, v52, v76                                // 000000006F3C: 0A989934
	v_mul_f32_e32 v77, v53, v77                                // 000000006F40: 0A9A9B35
	v_mul_f32_e32 v78, v54, v78                                // 000000006F44: 0A9C9D36
	v_mul_f32_e32 v79, v55, v79                                // 000000006F48: 0A9E9F37
	v_mul_f32_e32 v80, v56, v80                                // 000000006F4C: 0AA0A138
	v_mul_f32_e32 v81, v57, v81                                // 000000006F50: 0AA2A339
	v_mfma_f32_16x16x16_f16 v[192:195], v[130:131], v[164:165], v[192:195]// 000000006F54: D3CD00C0 07034982
	v_mul_f32_e32 v82, v58, v82                                // 000000006F5C: 0AA4A53A
	v_mul_f32_e32 v83, v59, v83                                // 000000006F60: 0AA6A73B
	v_mul_f32_e32 v84, v60, v84                                // 000000006F64: 0AA8A93C
	v_mul_f32_e32 v85, v61, v85                                // 000000006F68: 0AAAAB3D
	v_mul_f32_e32 v86, v62, v86                                // 000000006F6C: 0AACAD3E
	v_mul_f32_e32 v87, v63, v87                                // 000000006F70: 0AAEAF3F
	v_mfma_f32_16x16x16_f16 v[196:199], v[124:125], v[166:167], v[196:199]// 000000006F74: D3CD00C4 07134D7C
	v_cvt_pkrtz_f16_f32 v76, v76, v77                          // 000000006F7C: D296004C 00029B4C
	v_cvt_pkrtz_f16_f32 v77, v78, v79                          // 000000006F84: D296004D 00029F4E
	v_cvt_pkrtz_f16_f32 v78, v80, v81                          // 000000006F8C: D296004E 0002A350
	v_cvt_pkrtz_f16_f32 v79, v82, v83                          // 000000006F94: D296004F 0002A752
	v_cvt_pkrtz_f16_f32 v80, v84, v85                          // 000000006F9C: D2960050 0002AB54
	v_cvt_pkrtz_f16_f32 v81, v86, v87                          // 000000006FA4: D2960051 0002AF56
	v_mfma_f32_16x16x16_f16 v[200:203], v[126:127], v[166:167], v[200:203]// 000000006FAC: D3CD00C8 07234D7E
	v_mov_b32_dpp v18, v76 quad_perm:[1,0,3,2] row_mask:0xf bank_mask:0xf// 000000006FB4: 7E2402FA FF00B14C
	v_perm_b32 v52, v18, v76, v17                              // 000000006FBC: D1ED0034 04469912
	v_mov_b32_dpp v18, v77 quad_perm:[1,0,3,2] row_mask:0xf bank_mask:0xf// 000000006FC4: 7E2402FA FF00B14D
	v_perm_b32 v53, v18, v77, v17                              // 000000006FCC: D1ED0035 04469B12
	v_mov_b32_dpp v18, v78 quad_perm:[1,0,3,2] row_mask:0xf bank_mask:0xf// 000000006FD4: 7E2402FA FF00B14E
	v_perm_b32 v54, v18, v78, v17                              // 000000006FDC: D1ED0036 04469D12
	v_mfma_f32_16x16x16_f16 v[204:207], v[128:129], v[166:167], v[204:207]// 000000006FE4: D3CD00CC 07334D80
	v_mov_b32_dpp v18, v79 quad_perm:[1,0,3,2] row_mask:0xf bank_mask:0xf// 000000006FEC: 7E2402FA FF00B14F
	v_perm_b32 v55, v18, v79, v17                              // 000000006FF4: D1ED0037 04469F12
	v_mov_b32_dpp v18, v80 quad_perm:[1,0,3,2] row_mask:0xf bank_mask:0xf// 000000006FFC: 7E2402FA FF00B150
	v_perm_b32 v56, v18, v80, v17                              // 000000007004: D1ED0038 0446A112
	v_mov_b32_dpp v18, v81 quad_perm:[1,0,3,2] row_mask:0xf bank_mask:0xf// 00000000700C: 7E2402FA FF00B151
	v_perm_b32 v57, v18, v81, v17                              // 000000007014: D1ED0039 0446A312
	v_mfma_f32_16x16x16_f16 v[208:211], v[130:131], v[166:167], v[208:211]// 00000000701C: D3CD00D0 07434D82
	ds_write_b32 v20, v52 offset:17408                         // 000000007024: D81A4400 00003414
	ds_write_b32 v20, v53 offset:17952                         // 00000000702C: D81A4620 00003514
	v_mfma_f32_16x16x16_f16 v[212:215], v[124:125], v[168:169], v[212:215]// 000000007034: D3CD00D4 0753517C
	v_subrev_f32_dpp v88, v177, v88 quad_perm:[0,0,0,0] row_mask:0xf bank_mask:0xf// 00000000703C: 06B0B0FA FF0000B1
	v_subrev_f32_dpp v89, v177, v89 quad_perm:[1,1,1,1] row_mask:0xf bank_mask:0xf// 000000007044: 06B2B2FA FF0055B1
	v_subrev_f32_dpp v90, v177, v90 quad_perm:[2,2,2,2] row_mask:0xf bank_mask:0xf// 00000000704C: 06B4B4FA FF00AAB1
	v_subrev_f32_dpp v91, v177, v91 quad_perm:[3,3,3,3] row_mask:0xf bank_mask:0xf// 000000007054: 06B6B6FA FF00FFB1
	v_subrev_f32_dpp v92, v177, v92 quad_perm:[0,0,0,0] row_mask:0xf bank_mask:0xf// 00000000705C: 06B8B8FA FF0000B1
	v_subrev_f32_dpp v93, v177, v93 quad_perm:[1,1,1,1] row_mask:0xf bank_mask:0xf// 000000007064: 06BABAFA FF0055B1
	v_mfma_f32_16x16x16_f16 v[216:219], v[126:127], v[168:169], v[216:219]// 00000000706C: D3CD00D8 0763517E
	ds_write_b32 v20, v54 offset:19712                         // 000000007074: D81A4D00 00003614
	ds_write_b32 v20, v55 offset:20256                         // 00000000707C: D81A4F20 00003714
	v_mfma_f32_16x16x16_f16 v[220:223], v[128:129], v[168:169], v[220:223]// 000000007084: D3CD00DC 07735180
	v_subrev_f32_dpp v94, v177, v94 quad_perm:[2,2,2,2] row_mask:0xf bank_mask:0xf// 00000000708C: 06BCBCFA FF00AAB1
	v_subrev_f32_dpp v95, v177, v95 quad_perm:[3,3,3,3] row_mask:0xf bank_mask:0xf// 000000007094: 06BEBEFA FF00FFB1
	v_subrev_f32_dpp v96, v177, v96 quad_perm:[0,0,0,0] row_mask:0xf bank_mask:0xf// 00000000709C: 06C0C0FA FF0000B1
	v_subrev_f32_dpp v97, v177, v97 quad_perm:[1,1,1,1] row_mask:0xf bank_mask:0xf// 0000000070A4: 06C2C2FA FF0055B1
	v_subrev_f32_dpp v98, v177, v98 quad_perm:[2,2,2,2] row_mask:0xf bank_mask:0xf// 0000000070AC: 06C4C4FA FF00AAB1
	v_subrev_f32_dpp v99, v177, v99 quad_perm:[3,3,3,3] row_mask:0xf bank_mask:0xf// 0000000070B4: 06C6C6FA FF00FFB1
	v_mfma_f32_16x16x16_f16 v[224:227], v[130:131], v[168:169], v[224:227]// 0000000070BC: D3CD00E0 07835182
	ds_write_b32 v20, v56 offset:22016                         // 0000000070C4: D81A5600 00003814
	ds_write_b32 v20, v57 offset:22560                         // 0000000070CC: D81A5820 00003914
	v_mfma_f32_16x16x16_f16 v[180:183], v[132:133], v[170:171], v[180:183]// 0000000070D4: D3CD00B4 06D35584
	v_mul_f32_e32 v88, v64, v88                                // 0000000070DC: 0AB0B140
	v_mul_f32_e32 v89, v65, v89                                // 0000000070E0: 0AB2B341
	v_mul_f32_e32 v90, v66, v90                                // 0000000070E4: 0AB4B542
	v_mul_f32_e32 v91, v67, v91                                // 0000000070E8: 0AB6B743
	v_mul_f32_e32 v92, v68, v92                                // 0000000070EC: 0AB8B944
	v_mul_f32_e32 v93, v69, v93                                // 0000000070F0: 0ABABB45
	v_mfma_f32_16x16x16_f16 v[184:187], v[134:135], v[170:171], v[184:187]// 0000000070F4: D3CD00B8 06E35586
	v_mul_f32_e32 v94, v70, v94                                // 0000000070FC: 0ABCBD46
	v_mul_f32_e32 v95, v71, v95                                // 000000007100: 0ABEBF47
	v_mul_f32_e32 v96, v72, v96                                // 000000007104: 0AC0C148
	v_mul_f32_e32 v97, v73, v97                                // 000000007108: 0AC2C349
	v_mul_f32_e32 v98, v74, v98                                // 00000000710C: 0AC4C54A
	v_mul_f32_e32 v99, v75, v99                                // 000000007110: 0AC6C74B
	v_mfma_f32_16x16x16_f16 v[188:191], v[136:137], v[170:171], v[188:191]// 000000007114: D3CD00BC 06F35588
	v_cvt_pkrtz_f16_f32 v82, v88, v89                          // 00000000711C: D2960052 0002B358
	v_cvt_pkrtz_f16_f32 v83, v90, v91                          // 000000007124: D2960053 0002B75A
	v_cvt_pkrtz_f16_f32 v84, v92, v93                          // 00000000712C: D2960054 0002BB5C
	v_cvt_pkrtz_f16_f32 v85, v94, v95                          // 000000007134: D2960055 0002BF5E
	v_cvt_pkrtz_f16_f32 v86, v96, v97                          // 00000000713C: D2960056 0002C360
	v_cvt_pkrtz_f16_f32 v87, v98, v99                          // 000000007144: D2960057 0002C762
	v_mfma_f32_16x16x16_f16 v[192:195], v[138:139], v[170:171], v[192:195]// 00000000714C: D3CD00C0 0703558A
	v_mov_b32_dpp v18, v82 quad_perm:[1,0,3,2] row_mask:0xf bank_mask:0xf// 000000007154: 7E2402FA FF00B152
	v_perm_b32 v58, v18, v82, v17                              // 00000000715C: D1ED003A 0446A512
	v_mov_b32_dpp v18, v83 quad_perm:[1,0,3,2] row_mask:0xf bank_mask:0xf// 000000007164: 7E2402FA FF00B153
	v_perm_b32 v59, v18, v83, v17                              // 00000000716C: D1ED003B 0446A712
	v_mov_b32_dpp v18, v84 quad_perm:[1,0,3,2] row_mask:0xf bank_mask:0xf// 000000007174: 7E2402FA FF00B154
	v_perm_b32 v60, v18, v84, v17                              // 00000000717C: D1ED003C 0446A912
	v_mfma_f32_16x16x16_f16 v[196:199], v[132:133], v[172:173], v[196:199]// 000000007184: D3CD00C4 07135984
	v_mov_b32_dpp v18, v85 quad_perm:[1,0,3,2] row_mask:0xf bank_mask:0xf// 00000000718C: 7E2402FA FF00B155
	v_perm_b32 v61, v18, v85, v17                              // 000000007194: D1ED003D 0446AB12
	v_mov_b32_dpp v18, v86 quad_perm:[1,0,3,2] row_mask:0xf bank_mask:0xf// 00000000719C: 7E2402FA FF00B156
	v_perm_b32 v62, v18, v86, v17                              // 0000000071A4: D1ED003E 0446AD12
	v_mov_b32_dpp v18, v87 quad_perm:[1,0,3,2] row_mask:0xf bank_mask:0xf// 0000000071AC: 7E2402FA FF00B157
	v_perm_b32 v63, v18, v87, v17                              // 0000000071B4: D1ED003F 0446AF12
	v_mfma_f32_16x16x16_f16 v[200:203], v[134:135], v[172:173], v[200:203]// 0000000071BC: D3CD00C8 07235986
	ds_write_b32 v20, v58 offset:24320                         // 0000000071C4: D81A5F00 00003A14
	ds_write_b32 v20, v59 offset:24864                         // 0000000071CC: D81A6120 00003B14
	v_mfma_f32_16x16x16_f16 v[204:207], v[136:137], v[172:173], v[204:207]// 0000000071D4: D3CD00CC 07335988
	v_mfma_f32_16x16x16_f16 v[208:211], v[138:139], v[172:173], v[208:211]// 0000000071DC: D3CD00D0 0743598A
	ds_write_b32 v20, v60 offset:26624                         // 0000000071E4: D81A6800 00003C14
	ds_write_b32 v20, v61 offset:27168                         // 0000000071EC: D81A6A20 00003D14
	ds_write_b32 v20, v62 offset:28928                         // 0000000071F4: D81A7100 00003E14
	ds_write_b32 v20, v63 offset:29472                         // 0000000071FC: D81A7320 00003F14
	v_mfma_f32_16x16x16_f16 v[212:215], v[132:133], v[174:175], v[212:215]// 000000007204: D3CD00D4 07535D84
	v_mfma_f32_16x16x16_f16 v[216:219], v[134:135], v[174:175], v[216:219]// 00000000720C: D3CD00D8 07635D86
	ds_write_b32 v15, v100 offset:4352                         // 000000007214: D81A1100 0000640F
	ds_write_b32 v15, v101 offset:5408                         // 00000000721C: D81A1520 0000650F
	v_mfma_f32_16x16x16_f16 v[220:223], v[136:137], v[174:175], v[220:223]// 000000007224: D3CD00DC 07735D88
	s_nop 0                                                    // 00000000722C: BF800000
	s_nop 0                                                    // 000000007230: BF800000
	s_nop 0                                                    // 000000007234: BF800000
	v_mfma_f32_16x16x16_f16 v[224:227], v[138:139], v[174:175], v[224:227]// 000000007238: D3CD00E0 07835D8A
	ds_write_b32 v15, v102 offset:6528                         // 000000007240: D81A1980 0000660F
	ds_write_b32 v15, v103 offset:7584                         // 000000007248: D81A1DA0 0000670F
	s_barrier                                                  // 000000007250: BF8A0000
	v_mfma_f32_16x16x16_f16 a[112:115], a[96:97], v[76:77], a[112:115]// 000000007254: D3CD8070 0DC29960
	buffer_atomic_add_f32 v156, v6, s[32:35], 0 idxen          // 00000000725C: E1342000 80089C06
	v_mfma_f32_16x16x16_f16 a[116:119], a[98:99], v[76:77], a[116:119]// 000000007264: D3CD8074 0DD29962
	ds_read_b32 v140, v23 offset:39424                         // 00000000726C: D86C9A00 8C000017
	ds_read_b32 v144, v23 offset:39488                         // 000000007274: D86C9A40 90000017
	ds_read_b32 v176, v23 offset:39680                         // 00000000727C: D86C9B00 B0000017
	ds_read_b32 v177, v23 offset:39744                         // 000000007284: D86C9B40 B1000017
	v_mfma_f32_16x16x16_f16 a[120:123], a[100:101], v[76:77], a[120:123]// 00000000728C: D3CD8078 0DE29964
	s_waitcnt lgkmcnt(8)                                       // 000000007294: BF8CC87F
	s_barrier                                                  // 000000007298: BF8A0000
	v_mfma_f32_16x16x16_f16 a[124:127], a[102:103], v[76:77], a[124:127]// 00000000729C: D3CD807C 0DF29966
	ds_read_b128 v[52:55], v19 offset:17408                    // 0000000072A4: D9FE4400 34000013
	v_mfma_f32_16x16x16_f16 a[128:131], a[96:97], v[78:79], a[128:131]// 0000000072AC: D3CD8080 0E029D60
	v_mfma_f32_16x16x16_f16 a[132:135], a[98:99], v[78:79], a[132:135]// 0000000072B4: D3CD8084 0E129D62
	ds_read_b128 v[56:59], v19 offset:18560                    // 0000000072BC: D9FE4880 38000013
	v_mfma_f32_16x16x16_f16 a[136:139], a[100:101], v[78:79], a[136:139]// 0000000072C4: D3CD8088 0E229D64
	buffer_atomic_add_f32 v157, v7, s[32:35], 0 idxen          // 0000000072CC: E1342000 80089D07
	v_mfma_f32_16x16x16_f16 a[140:143], a[102:103], v[78:79], a[140:143]// 0000000072D4: D3CD808C 0E329D66
	ds_read_b128 v[60:63], v19 offset:19712                    // 0000000072DC: D9FE4D00 3C000013
	v_mfma_f32_16x16x16_f16 a[144:147], a[96:97], v[80:81], a[144:147]// 0000000072E4: D3CD8090 0E42A160
	v_mfma_f32_16x16x16_f16 a[148:151], a[98:99], v[80:81], a[148:151]// 0000000072EC: D3CD8094 0E52A162
	ds_read_b128 v[64:67], v19 offset:20864                    // 0000000072F4: D9FE5180 40000013
	v_mfma_f32_16x16x16_f16 a[152:155], a[100:101], v[80:81], a[152:155]// 0000000072FC: D3CD8098 0E62A164
	v_mfma_f32_16x16x16_f16 a[156:159], a[102:103], v[80:81], a[156:159]// 000000007304: D3CD809C 0E72A166
	ds_read_b128 v[68:71], v19 offset:22016                    // 00000000730C: D9FE5600 44000013
	v_mfma_f32_16x16x16_f16 a[112:115], a[104:105], v[82:83], a[112:115]// 000000007314: D3CD8070 0DC2A568
	buffer_atomic_add_f32 v158, v6, s[32:35], 0 idxen offset:128// 00000000731C: E1342080 80089E06
	v_mfma_f32_16x16x16_f16 a[116:119], a[106:107], v[82:83], a[116:119]// 000000007324: D3CD8074 0DD2A56A
	ds_read_b128 v[72:75], v19 offset:23168                    // 00000000732C: D9FE5A80 48000013
	v_mfma_f32_16x16x16_f16 a[120:123], a[108:109], v[82:83], a[120:123]// 000000007334: D3CD8078 0DE2A56C
	v_mfma_f32_16x16x16_f16 a[124:127], a[110:111], v[82:83], a[124:127]// 00000000733C: D3CD807C 0DF2A56E
	ds_write_b32 v15, v104 offset:13056                        // 000000007344: D81A3300 0000680F
	v_mfma_f32_16x16x16_f16 a[128:131], a[104:105], v[84:85], a[128:131]// 00000000734C: D3CD8080 0E02A968
	v_mfma_f32_16x16x16_f16 a[132:135], a[106:107], v[84:85], a[132:135]// 000000007354: D3CD8084 0E12A96A
	ds_write_b32 v15, v105 offset:14112                        // 00000000735C: D81A3720 0000690F
	v_mfma_f32_16x16x16_f16 a[136:139], a[108:109], v[84:85], a[136:139]// 000000007364: D3CD8088 0E22A96C
	buffer_atomic_add_f32 v159, v7, s[32:35], 0 idxen offset:128// 00000000736C: E1342080 80089F07
	v_mfma_f32_16x16x16_f16 a[140:143], a[110:111], v[84:85], a[140:143]// 000000007374: D3CD808C 0E32A96E
	ds_write_b32 v15, v106 offset:15232                        // 00000000737C: D81A3B80 00006A0F
	v_mfma_f32_16x16x16_f16 a[144:147], a[104:105], v[86:87], a[144:147]// 000000007384: D3CD8090 0E42AD68
	v_mfma_f32_16x16x16_f16 a[148:151], a[106:107], v[86:87], a[148:151]// 00000000738C: D3CD8094 0E52AD6A
	ds_write_b32 v15, v107 offset:16288                        // 000000007394: D81A3FA0 00006B0F
	v_mfma_f32_16x16x16_f16 a[152:155], a[108:109], v[86:87], a[152:155]// 00000000739C: D3CD8098 0E62AD6C
	v_mfma_f32_16x16x16_f16 a[156:159], a[110:111], v[86:87], a[156:159]// 0000000073A4: D3CD809C 0E72AD6E
	s_waitcnt vmcnt(8) lgkmcnt(4)                              // 0000000073AC: BF8C0478
	s_barrier                                                  // 0000000073B0: BF8A0000
	v_mfma_f32_16x16x16_f16 v[148:151], v[52:53], a[24:25], 0  // 0000000073B4: D3CD0094 12023134
	v_mul_f32_e32 v140, s48, v140                              // 0000000073BC: 0B191830
	v_mul_f32_e32 v144, s48, v144                              // 0000000073C0: 0B212030
	s_nop 0                                                    // 0000000073C4: BF800000
	v_mfma_f32_16x16x16_f16 v[148:151], v[54:55], a[28:29], v[148:151]// 0000000073C8: D3CD0094 16523936
	ds_read_b128 a[96:99], v12                                 // 0000000073D0: DBFE0000 6000000C
	buffer_load_dword v36, v1, s[8:11], 0 idxen                // 0000000073D8: E0502000 80022401
	v_mfma_f32_16x16x16_f16 v[148:151], v[56:57], a[32:33], v[148:151]// 0000000073E0: D3CD0094 16524138
	v_mfma_f32_16x16x16_f16 v[148:151], v[58:59], a[36:37], v[148:151]// 0000000073E8: D3CD0094 1652493A
	ds_read_b128 a[100:103], v12 offset:512                    // 0000000073F0: DBFE0200 6400000C
	buffer_load_dword v37, v2, s[8:11], 0 idxen                // 0000000073F8: E0502000 80022502
	v_mfma_f32_16x16x16_f16 v[148:151], v[60:61], a[40:41], v[148:151]// 000000007400: D3CD0094 1652513C
	v_perm_b32 v100, v41, v40, s63                             // 000000007408: D1ED0064 00FE5129
	v_perm_b32 v101, v41, v40, s64                             // 000000007410: D1ED0065 01025129
	v_mfma_f32_16x16x16_f16 v[148:151], v[62:63], a[44:45], v[148:151]// 000000007418: D3CD0094 1652593E
	ds_read_b128 a[104:107], v12 offset:2176                   // 000000007420: DBFE0880 6800000C
	buffer_load_dword v38, v3, s[8:11], 0 idxen                // 000000007428: E0502000 80022603
	v_mfma_f32_16x16x16_f16 v[148:151], v[64:65], a[48:49], v[148:151]// 000000007430: D3CD0094 16526140
	v_perm_b32 v102, v43, v42, s63                             // 000000007438: D1ED0066 00FE552B
	v_perm_b32 v103, v43, v42, s64                             // 000000007440: D1ED0067 0102552B
	v_mfma_f32_16x16x16_f16 v[148:151], v[66:67], a[52:53], v[148:151]// 000000007448: D3CD0094 16526942
	ds_read_b128 a[108:111], v12 offset:2688                   // 000000007450: DBFE0A80 6C00000C
	buffer_load_dword v39, v4, s[8:11], 0 idxen                // 000000007458: E0502000 80022704
	v_mfma_f32_16x16x16_f16 v[148:151], v[68:69], a[56:57], v[148:151]// 000000007460: D3CD0094 16527144
	v_perm_b32 v104, v49, v48, s63                             // 000000007468: D1ED0068 00FE6131
	v_perm_b32 v105, v49, v48, s64                             // 000000007470: D1ED0069 01026131
	v_mfma_f32_16x16x16_f16 v[148:151], v[70:71], a[60:61], v[148:151]// 000000007478: D3CD0094 16527946
	ds_read_b128 v[108:111], v12 offset:8704                   // 000000007480: D9FE2200 6C00000C
	buffer_load_dword v44, v228, s[20:23], 0 idxen             // 000000007488: E0502000 80052CE4
	v_mfma_f32_16x16x16_f16 v[148:151], v[72:73], a[64:65], v[148:151]// 000000007490: D3CD0094 16528148
	v_perm_b32 v106, v51, v50, s63                             // 000000007498: D1ED006A 00FE6533
	v_perm_b32 v107, v51, v50, s64                             // 0000000074A0: D1ED006B 01026533
	v_mfma_f32_16x16x16_f16 v[148:151], v[74:75], a[68:69], v[148:151]// 0000000074A8: D3CD0094 1652894A
	ds_read_b128 v[112:115], v12 offset:9216                   // 0000000074B0: D9FE2400 7000000C
	buffer_load_dword v45, v229, s[20:23], 0 idxen             // 0000000074B8: E0502000 80052DE5
	v_mfma_f32_16x16x16_f16 v[152:155], v[52:53], a[26:27], 0  // 0000000074C0: D3CD0098 12023534
	v_mov_b32_dpp v143, v140 quad_perm:[3,3,3,3] row_mask:0xf bank_mask:0xf// 0000000074C8: 7F1E02FA FF00FF8C
	v_mov_b32_dpp v142, v140 quad_perm:[2,2,2,2] row_mask:0xf bank_mask:0xf// 0000000074D0: 7F1C02FA FF00AA8C
	v_mov_b32_dpp v141, v140 quad_perm:[1,1,1,1] row_mask:0xf bank_mask:0xf// 0000000074D8: 7F1A02FA FF00558C
	v_mov_b32_dpp v140, v140 quad_perm:[0,0,0,0] row_mask:0xf bank_mask:0xf// 0000000074E0: 7F1802FA FF00008C
	v_mfma_f32_16x16x16_f16 v[152:155], v[54:55], a[30:31], v[152:155]// 0000000074E8: D3CD0098 16623D36
	ds_read_b128 v[116:119], v12 offset:10880                  // 0000000074F0: D9FE2A80 7400000C
	buffer_load_dword v46, v230, s[20:23], 0 idxen             // 0000000074F8: E0502000 80052EE6
	v_mfma_f32_16x16x16_f16 v[152:155], v[56:57], a[34:35], v[152:155]// 000000007500: D3CD0098 16624538
	v_mov_b32_dpp v147, v144 quad_perm:[3,3,3,3] row_mask:0xf bank_mask:0xf// 000000007508: 7F2602FA FF00FF90
	v_mov_b32_dpp v146, v144 quad_perm:[2,2,2,2] row_mask:0xf bank_mask:0xf// 000000007510: 7F2402FA FF00AA90
	v_mov_b32_dpp v145, v144 quad_perm:[1,1,1,1] row_mask:0xf bank_mask:0xf// 000000007518: 7F2202FA FF005590
	v_mov_b32_dpp v144, v144 quad_perm:[0,0,0,0] row_mask:0xf bank_mask:0xf// 000000007520: 7F2002FA FF000090
	s_add_u32 s60, 0x80, s59                                   // 000000007528: 803C3BFF 00000080
	v_mfma_f32_16x16x16_f16 v[152:155], v[58:59], a[38:39], v[152:155]// 000000007530: D3CD0098 16624D3A
	ds_read_b128 v[120:123], v12 offset:11392                  // 000000007538: D9FE2C80 7800000C
	buffer_load_dword v47, v231, s[20:23], 0 idxen             // 000000007540: E0502000 80052FE7
	v_mfma_f32_16x16x16_f16 v[152:155], v[60:61], a[42:43], v[152:155]// 000000007548: D3CD0098 1662553C
	s_cmp_lt_u32 s60, s58                                      // 000000007550: BF0A3A3C
	s_cselect_b32 s68, s68, 0                                  // 000000007554: 85448044
	s_cselect_b32 s100, s100, 0                                // 000000007558: 85648064
	s_cselect_b32 s69, s69, 0                                  // 00000000755C: 85458045
	v_mfma_f32_16x16x16_f16 v[152:155], v[62:63], a[46:47], v[152:155]// 000000007560: D3CD0098 16625D3E
	buffer_load_dword v11, s[24:27], 0 idxen lds               // 000000007568: E0512000 8006000B
	v_mfma_f32_16x16x16_f16 v[152:155], v[64:65], a[50:51], v[152:155]// 000000007570: D3CD0098 16626540
	v_add_u32_e32 v1, s68, v1                                  // 000000007578: 68020244
	v_add_u32_e32 v2, s68, v2                                  // 00000000757C: 68040444
	v_add_u32_e32 v3, s68, v3                                  // 000000007580: 68060644
	v_add_u32_e32 v4, s68, v4                                  // 000000007584: 68080844
	v_mfma_f32_16x16x16_f16 v[152:155], v[66:67], a[54:55], v[152:155]// 000000007588: D3CD0098 16626D42
	v_add_u32_e32 v228, s100, v228                             // 000000007590: 69C9C864
	v_add_u32_e32 v229, s100, v229                             // 000000007594: 69CBCA64
	v_add_u32_e32 v230, s100, v230                             // 000000007598: 69CDCC64
	v_add_u32_e32 v231, s100, v231                             // 00000000759C: 69CFCE64
	v_mfma_f32_16x16x16_f16 v[152:155], v[68:69], a[58:59], v[152:155]// 0000000075A0: D3CD0098 16627544
	s_mov_b32 m0, s79                                          // 0000000075A8: BEFC004F
	v_add_u32_e32 v11, s69, v11                                // 0000000075AC: 68161645
	v_mfma_f32_16x16x16_f16 v[152:155], v[70:71], a[62:63], v[152:155]// 0000000075B0: D3CD0098 16627D46
	s_cmp_ge_u32 s59, s73                                      // 0000000075B8: BF09493B
	s_cselect_b32 s66, s67, s66                                // 0000000075BC: 85424243
	v_mfma_f32_16x16x16_f16 v[152:155], v[72:73], a[66:67], v[152:155]// 0000000075C0: D3CD0098 16628548
	s_addk_i32 s59, 0x20                                       // 0000000075C8: B73B0020
	s_nop 0                                                    // 0000000075CC: BF800000
	s_cmp_lt_i32 s59, s58                                      // 0000000075D0: BF043A3B
	v_mfma_f32_16x16x16_f16 v[152:155], v[74:75], a[70:71], v[152:155]// 0000000075D4: D3CD0098 16628D4A
	s_cbranch_scc0 label_0E0B                                  // 0000000075DC: BF840001
	s_branch label_0670                                        // 0000000075E0: BF82F877

00000000000075e4 <label_0E0B>:
	s_nop 0                                                    // 0000000075E4: BF800000
	s_nop 0                                                    // 0000000075E8: BF800000
	s_branch label_15A9                                        // 0000000075EC: BF820789

00000000000075f0 <label_0E0E>:
	s_waitcnt lgkmcnt(4)                                       // 0000000075F0: BF8CC47F
	s_barrier                                                  // 0000000075F4: BF8A0000
	v_mfma_f32_16x16x16_f16 v[52:55], a[96:97], a[0:1], 0      // 0000000075F8: D3CD0034 1A020160
	v_mul_f32_e32 v148, s47, v148                              // 000000007600: 0B29282F
	v_mul_f32_e32 v149, s47, v149                              // 000000007604: 0B2B2A2F
	v_mfma_f32_16x16x16_f16 v[52:55], a[98:99], a[2:3], v[52:55]// 000000007608: D3CD0034 1CD20562
	ds_write_b32 v13, v48 offset:8704                          // 000000007610: D81A2200 0000300D
	ds_write_b32 v13, v49 offset:9760                          // 000000007618: D81A2620 0000310D
	v_mfma_f32_16x16x16_f16 v[52:55], a[100:101], a[4:5], v[52:55]// 000000007620: D3CD0034 1CD20964
	v_mul_f32_e32 v150, s47, v150                              // 000000007628: 0B2D2C2F
	v_mul_f32_e32 v151, s47, v151                              // 00000000762C: 0B2F2E2F
	v_mfma_f32_16x16x16_f16 v[52:55], a[102:103], a[6:7], v[52:55]// 000000007630: D3CD0034 1CD20D66
	ds_write_b32 v13, v50 offset:10880                         // 000000007638: D81A2A80 0000320D
	ds_write_b32 v13, v51 offset:11936                         // 000000007640: D81A2EA0 0000330D
	v_mfma_f32_16x16x16_f16 v[56:59], a[96:97], a[8:9], 0      // 000000007648: D3CD0038 1A021160
	v_mul_f32_e32 v152, s47, v152                              // 000000007650: 0B31302F
	v_mul_f32_e32 v153, s47, v153                              // 000000007654: 0B33322F
	v_mfma_f32_16x16x16_f16 v[56:59], a[98:99], a[10:11], v[56:59]// 000000007658: D3CD0038 1CE21562
	ds_write_b64 v22, v[148:149] offset:31232                  // 000000007660: D89A7A00 00009416
	v_mfma_f32_16x16x16_f16 v[56:59], a[100:101], a[12:13], v[56:59]// 000000007668: D3CD0038 1CE21964
	v_mul_f32_e32 v154, s47, v154                              // 000000007670: 0B35342F
	v_mul_f32_e32 v155, s47, v155                              // 000000007674: 0B37362F
	v_mfma_f32_16x16x16_f16 v[56:59], a[102:103], a[14:15], v[56:59]// 000000007678: D3CD0038 1CE21D66
	ds_write_b64 v22, v[150:151] offset:31744                  // 000000007680: D89A7C00 00009616
	v_mfma_f32_16x16x16_f16 v[60:63], a[96:97], a[16:17], 0    // 000000007688: D3CD003C 1A022160
	buffer_atomic_add_f32 v160, v8, s[32:35], 0 idxen          // 000000007690: E1342000 8008A008
	v_mfma_f32_16x16x16_f16 v[60:63], a[98:99], a[18:19], v[60:63]// 000000007698: D3CD003C 1CF22562
	ds_write_b64 v22, v[152:153] offset:32256                  // 0000000076A0: D89A7E00 00009816
	v_mfma_f32_16x16x16_f16 v[60:63], a[100:101], a[20:21], v[60:63]// 0000000076A8: D3CD003C 1CF22964
	v_mfma_f32_16x16x16_f16 v[60:63], a[102:103], a[22:23], v[60:63]// 0000000076B0: D3CD003C 1CF22D66
	ds_write_b64 v22, v[154:155] offset:32768                  // 0000000076B8: D89A8000 00009A16
	v_mfma_f32_16x16x16_f16 v[64:67], a[104:105], a[0:1], 0    // 0000000076C0: D3CD0040 1A020168
	buffer_atomic_add_f32 v161, v9, s[32:35], 0 idxen          // 0000000076C8: E1342000 8008A109
	v_mfma_f32_16x16x16_f16 v[64:67], a[106:107], a[2:3], v[64:67]// 0000000076D0: D3CD0040 1D02056A
	ds_read_b128 v[124:127], v14 offset:13056                  // 0000000076D8: D9FE3300 7C00000E
	ds_write_b32 v13, v40                                      // 0000000076E0: D81A0000 0000280D
	v_mfma_f32_16x16x16_f16 v[64:67], a[108:109], a[4:5], v[64:67]// 0000000076E8: D3CD0040 1D02096C
	v_mfma_f32_16x16x16_f16 v[64:67], a[110:111], a[6:7], v[64:67]// 0000000076F0: D3CD0040 1D020D6E
	v_mfma_f32_16x16x16_f16 v[68:71], a[104:105], a[8:9], 0    // 0000000076F8: D3CD0044 1A021168
	ds_read_b128 v[128:131], v14 offset:13568                  // 000000007700: D9FE3500 8000000E
	ds_write_b32 v13, v41 offset:1056                          // 000000007708: D81A0420 0000290D
	v_mfma_f32_16x16x16_f16 v[68:71], a[106:107], a[10:11], v[68:71]// 000000007710: D3CD0044 1D12156A
	buffer_atomic_add_f32 v162, v8, s[32:35], 0 idxen offset:128// 000000007718: E1342080 8008A208
	v_mfma_f32_16x16x16_f16 v[68:71], a[108:109], a[12:13], v[68:71]// 000000007720: D3CD0044 1D12196C
	v_mfma_f32_16x16x16_f16 v[68:71], a[110:111], a[14:15], v[68:71]// 000000007728: D3CD0044 1D121D6E
	ds_read_b128 v[132:135], v14 offset:15232                  // 000000007730: D9FE3B80 8400000E
	ds_write_b32 v13, v42 offset:2176                          // 000000007738: D81A0880 00002A0D
	v_mfma_f32_16x16x16_f16 v[72:75], a[104:105], a[16:17], 0  // 000000007740: D3CD0048 1A022168
	v_mfma_f32_16x16x16_f16 v[72:75], a[106:107], a[18:19], v[72:75]// 000000007748: D3CD0048 1D22256A
	buffer_atomic_add_f32 v163, v9, s[32:35], 0 idxen offset:128// 000000007750: E1342080 8008A309
	v_mfma_f32_16x16x16_f16 v[72:75], a[108:109], a[20:21], v[72:75]// 000000007758: D3CD0048 1D22296C
	ds_read_b128 v[136:139], v14 offset:15744                  // 000000007760: D9FE3D80 8800000E
	ds_write_b32 v13, v43 offset:3232                          // 000000007768: D81A0CA0 00002B0D
	v_mfma_f32_16x16x16_f16 v[72:75], a[110:111], a[22:23], v[72:75]// 000000007770: D3CD0048 1D222D6E
	s_cmp_eq_i32 s80, 0                                        // 000000007778: BF008050
	s_cbranch_scc1 label_0F6B                                  // 00000000777C: BF8500F0
	s_cmp_lt_i32 s74, 6                                        // 000000007780: BF04864A
	s_cbranch_scc0 label_0EF2                                  // 000000007784: BF84007E
	s_lshl_b32 s60, s74, 5                                     // 000000007788: 8E3C854A
	s_lshl_b32 s61, 0, 4                                       // 00000000778C: 8E3D8480
	s_add_i32 s60, s60, s61                                    // 000000007790: 813C3D3C
	v_sub_i32 v32, v232, s60                                   // 000000007794: D29D0020 000079E8
	s_mov_b32 s61, 0                                           // 00000000779C: BEBD0080
	v_add_i32 v33, v32, s61                                    // 0000000077A0: D29C0021 00007B20
	v_cmp_gt_i32_e64 s[70:71], v33, 0                          // 0000000077A8: D0C40046 00010121
	v_cmp_gt_i32_e64 s[82:83], v33, 1                          // 0000000077B0: D0C40052 00010321
	v_cndmask_b32_e64 v52, v52, v178, s[70:71]                 // 0000000077B8: D1000034 011B6534
	v_cndmask_b32_e64 v53, v53, v178, s[82:83]                 // 0000000077C0: D1000035 014B6535
	v_cmp_gt_i32_e64 s[70:71], v33, 2                          // 0000000077C8: D0C40046 00010521
	v_cmp_gt_i32_e64 s[82:83], v33, 3                          // 0000000077D0: D0C40052 00010721
	v_cndmask_b32_e64 v54, v54, v178, s[70:71]                 // 0000000077D8: D1000036 011B6536
	v_cndmask_b32_e64 v55, v55, v178, s[82:83]                 // 0000000077E0: D1000037 014B6537
	s_mov_b32 s61, 64                                          // 0000000077E8: BEBD00C0
	v_add_i32 v33, v32, s61                                    // 0000000077EC: D29C0021 00007B20
	v_cmp_gt_i32_e64 s[70:71], v33, 0                          // 0000000077F4: D0C40046 00010121
	v_cmp_gt_i32_e64 s[82:83], v33, 1                          // 0000000077FC: D0C40052 00010321
	v_cndmask_b32_e64 v56, v56, v178, s[70:71]                 // 000000007804: D1000038 011B6538
	v_cndmask_b32_e64 v57, v57, v178, s[82:83]                 // 00000000780C: D1000039 014B6539
	v_cmp_gt_i32_e64 s[70:71], v33, 2                          // 000000007814: D0C40046 00010521
	v_cmp_gt_i32_e64 s[82:83], v33, 3                          // 00000000781C: D0C40052 00010721
	v_cndmask_b32_e64 v58, v58, v178, s[70:71]                 // 000000007824: D100003A 011B653A
	v_cndmask_b32_e64 v59, v59, v178, s[82:83]                 // 00000000782C: D100003B 014B653B
	s_mov_b32 s61, 0x80                                        // 000000007834: BEBD00FF 00000080
	v_add_i32 v33, v32, s61                                    // 00000000783C: D29C0021 00007B20
	v_cmp_gt_i32_e64 s[70:71], v33, 0                          // 000000007844: D0C40046 00010121
	v_cmp_gt_i32_e64 s[82:83], v33, 1                          // 00000000784C: D0C40052 00010321
	v_cndmask_b32_e64 v60, v60, v178, s[70:71]                 // 000000007854: D100003C 011B653C
	v_cndmask_b32_e64 v61, v61, v178, s[82:83]                 // 00000000785C: D100003D 014B653D
	v_cmp_gt_i32_e64 s[70:71], v33, 2                          // 000000007864: D0C40046 00010521
	v_cmp_gt_i32_e64 s[82:83], v33, 3                          // 00000000786C: D0C40052 00010721
	v_cndmask_b32_e64 v62, v62, v178, s[70:71]                 // 000000007874: D100003E 011B653E
	v_cndmask_b32_e64 v63, v63, v178, s[82:83]                 // 00000000787C: D100003F 014B653F
	s_lshl_b32 s60, s74, 5                                     // 000000007884: 8E3C854A
	s_lshl_b32 s61, 1, 4                                       // 000000007888: 8E3D8481
	s_add_i32 s60, s60, s61                                    // 00000000788C: 813C3D3C
	v_sub_i32 v32, v232, s60                                   // 000000007890: D29D0020 000079E8
	s_mov_b32 s61, 0                                           // 000000007898: BEBD0080
	v_add_i32 v33, v32, s61                                    // 00000000789C: D29C0021 00007B20
	v_cmp_gt_i32_e64 s[70:71], v33, 0                          // 0000000078A4: D0C40046 00010121
	v_cmp_gt_i32_e64 s[82:83], v33, 1                          // 0000000078AC: D0C40052 00010321
	v_cndmask_b32_e64 v64, v64, v178, s[70:71]                 // 0000000078B4: D1000040 011B6540
	v_cndmask_b32_e64 v65, v65, v178, s[82:83]                 // 0000000078BC: D1000041 014B6541
	v_cmp_gt_i32_e64 s[70:71], v33, 2                          // 0000000078C4: D0C40046 00010521
	v_cmp_gt_i32_e64 s[82:83], v33, 3                          // 0000000078CC: D0C40052 00010721
	v_cndmask_b32_e64 v66, v66, v178, s[70:71]                 // 0000000078D4: D1000042 011B6542
	v_cndmask_b32_e64 v67, v67, v178, s[82:83]                 // 0000000078DC: D1000043 014B6543
	s_mov_b32 s61, 64                                          // 0000000078E4: BEBD00C0
	v_add_i32 v33, v32, s61                                    // 0000000078E8: D29C0021 00007B20
	v_cmp_gt_i32_e64 s[70:71], v33, 0                          // 0000000078F0: D0C40046 00010121
	v_cmp_gt_i32_e64 s[82:83], v33, 1                          // 0000000078F8: D0C40052 00010321
	v_cndmask_b32_e64 v68, v68, v178, s[70:71]                 // 000000007900: D1000044 011B6544
	v_cndmask_b32_e64 v69, v69, v178, s[82:83]                 // 000000007908: D1000045 014B6545
	v_cmp_gt_i32_e64 s[70:71], v33, 2                          // 000000007910: D0C40046 00010521
	v_cmp_gt_i32_e64 s[82:83], v33, 3                          // 000000007918: D0C40052 00010721
	v_cndmask_b32_e64 v70, v70, v178, s[70:71]                 // 000000007920: D1000046 011B6546
	v_cndmask_b32_e64 v71, v71, v178, s[82:83]                 // 000000007928: D1000047 014B6547
	s_mov_b32 s61, 0x80                                        // 000000007930: BEBD00FF 00000080
	v_add_i32 v33, v32, s61                                    // 000000007938: D29C0021 00007B20
	v_cmp_gt_i32_e64 s[70:71], v33, 0                          // 000000007940: D0C40046 00010121
	v_cmp_gt_i32_e64 s[82:83], v33, 1                          // 000000007948: D0C40052 00010321
	v_cndmask_b32_e64 v72, v72, v178, s[70:71]                 // 000000007950: D1000048 011B6548
	v_cndmask_b32_e64 v73, v73, v178, s[82:83]                 // 000000007958: D1000049 014B6549
	v_cmp_gt_i32_e64 s[70:71], v33, 2                          // 000000007960: D0C40046 00010521
	v_cmp_gt_i32_e64 s[82:83], v33, 3                          // 000000007968: D0C40052 00010721
	v_cndmask_b32_e64 v74, v74, v178, s[70:71]                 // 000000007970: D100004A 011B654A
	v_cndmask_b32_e64 v75, v75, v178, s[82:83]                 // 000000007978: D100004B 014B654B

0000000000007980 <label_0EF2>:
	s_cmp_lt_i32 s84, 0xc0                                     // 000000007980: BF04FF54 000000C0
	s_cbranch_scc0 label_0F6B                                  // 000000007988: BF84006D
	s_cmp_le_i32 s84, 64                                       // 00000000798C: BF05C054
	s_cbranch_scc1 label_0EFE                                  // 000000007990: BF850007
	s_cmp_le_i32 s84, 0x80                                     // 000000007994: BF05FF54 00000080
	s_cbranch_scc1 label_0F22                                  // 00000000799C: BF85001F
	s_cmp_lt_i32 s84, 0xc0                                     // 0000000079A0: BF04FF54 000000C0
	s_cbranch_scc1 label_0F46                                  // 0000000079A8: BF850040
	s_branch label_0F6B                                        // 0000000079AC: BF820064

00000000000079b0 <label_0EFE>:
	s_mov_b32 s60, 0                                           // 0000000079B0: BEBC0080
	v_and_b32_e32 v32, 15, v0                                  // 0000000079B4: 2640008F
	v_add_u32_e64 v32, v32, s60                                // 0000000079B8: D1340020 00007920
	v_mul_i32_i24_e64 v33, s46, 16                             // 0000000079C0: D1060021 0001202E
	v_add_u32_e32 v32, v32, v33                                // 0000000079C8: 68404320
	v_cmp_lt_u32_e64 s[60:61], v32, s84                        // 0000000079CC: D0C9003C 0000A920
	s_nop 1                                                    // 0000000079D4: BF800001
	v_cndmask_b32_e64 v52, v178, v52, s[60:61]                 // 0000000079D8: D1000034 00F269B2
	v_cndmask_b32_e64 v64, v178, v64, s[60:61]                 // 0000000079E0: D1000040 00F281B2
	v_cndmask_b32_e64 v53, v178, v53, s[60:61]                 // 0000000079E8: D1000035 00F26BB2
	v_cndmask_b32_e64 v65, v178, v65, s[60:61]                 // 0000000079F0: D1000041 00F283B2
	v_cndmask_b32_e64 v54, v178, v54, s[60:61]                 // 0000000079F8: D1000036 00F26DB2
	v_cndmask_b32_e64 v66, v178, v66, s[60:61]                 // 000000007A00: D1000042 00F285B2
	v_cndmask_b32_e64 v55, v178, v55, s[60:61]                 // 000000007A08: D1000037 00F26FB2
	v_cndmask_b32_e64 v67, v178, v67, s[60:61]                 // 000000007A10: D1000043 00F287B2
	s_branch label_0F3D                                        // 000000007A18: BF82001B

0000000000007a1c <label_0F22>:
	s_mov_b32 s60, 64                                          // 000000007A1C: BEBC00C0
	v_and_b32_e32 v32, 15, v0                                  // 000000007A20: 2640008F
	v_add_u32_e64 v32, v32, s60                                // 000000007A24: D1340020 00007920
	v_mul_i32_i24_e64 v33, s46, 16                             // 000000007A2C: D1060021 0001202E
	v_add_u32_e32 v32, v32, v33                                // 000000007A34: 68404320
	v_cmp_lt_u32_e64 s[60:61], v32, s84                        // 000000007A38: D0C9003C 0000A920
	s_nop 1                                                    // 000000007A40: BF800001
	v_cndmask_b32_e64 v56, v178, v56, s[60:61]                 // 000000007A44: D1000038 00F271B2
	v_cndmask_b32_e64 v68, v178, v68, s[60:61]                 // 000000007A4C: D1000044 00F289B2
	v_cndmask_b32_e64 v57, v178, v57, s[60:61]                 // 000000007A54: D1000039 00F273B2
	v_cndmask_b32_e64 v69, v178, v69, s[60:61]                 // 000000007A5C: D1000045 00F28BB2
	v_cndmask_b32_e64 v58, v178, v58, s[60:61]                 // 000000007A64: D100003A 00F275B2
	v_cndmask_b32_e64 v70, v178, v70, s[60:61]                 // 000000007A6C: D1000046 00F28DB2
	v_cndmask_b32_e64 v59, v178, v59, s[60:61]                 // 000000007A74: D100003B 00F277B2
	v_cndmask_b32_e64 v71, v178, v71, s[60:61]                 // 000000007A7C: D1000047 00F28FB2
	s_branch label_0F62                                        // 000000007A84: BF820025

0000000000007a88 <label_0F3D>:
	v_mov_b32_e32 v56, v178                                    // 000000007A88: 7E7003B2
	v_mov_b32_e32 v68, v178                                    // 000000007A8C: 7E8803B2
	v_mov_b32_e32 v57, v178                                    // 000000007A90: 7E7203B2
	v_mov_b32_e32 v69, v178                                    // 000000007A94: 7E8A03B2
	v_mov_b32_e32 v58, v178                                    // 000000007A98: 7E7403B2
	v_mov_b32_e32 v70, v178                                    // 000000007A9C: 7E8C03B2
	v_mov_b32_e32 v59, v178                                    // 000000007AA0: 7E7603B2
	v_mov_b32_e32 v71, v178                                    // 000000007AA4: 7E8E03B2
	s_branch label_0F62                                        // 000000007AA8: BF82001C

0000000000007aac <label_0F46>:
	s_mov_b32 s60, 0x80                                        // 000000007AAC: BEBC00FF 00000080
	v_and_b32_e32 v32, 15, v0                                  // 000000007AB4: 2640008F
	v_add_u32_e64 v32, v32, s60                                // 000000007AB8: D1340020 00007920
	v_mul_i32_i24_e64 v33, s46, 16                             // 000000007AC0: D1060021 0001202E
	v_add_u32_e32 v32, v32, v33                                // 000000007AC8: 68404320
	v_cmp_lt_u32_e64 s[60:61], v32, s84                        // 000000007ACC: D0C9003C 0000A920
	s_nop 1                                                    // 000000007AD4: BF800001
	v_cndmask_b32_e64 v60, v178, v60, s[60:61]                 // 000000007AD8: D100003C 00F279B2
	v_cndmask_b32_e64 v72, v178, v72, s[60:61]                 // 000000007AE0: D1000048 00F291B2
	v_cndmask_b32_e64 v61, v178, v61, s[60:61]                 // 000000007AE8: D100003D 00F27BB2
	v_cndmask_b32_e64 v73, v178, v73, s[60:61]                 // 000000007AF0: D1000049 00F293B2
	v_cndmask_b32_e64 v62, v178, v62, s[60:61]                 // 000000007AF8: D100003E 00F27DB2
	v_cndmask_b32_e64 v74, v178, v74, s[60:61]                 // 000000007B00: D100004A 00F295B2
	v_cndmask_b32_e64 v63, v178, v63, s[60:61]                 // 000000007B08: D100003F 00F27FB2
	v_cndmask_b32_e64 v75, v178, v75, s[60:61]                 // 000000007B10: D100004B 00F297B2
	s_branch label_0F6B                                        // 000000007B18: BF820009

0000000000007b1c <label_0F62>:
	v_mov_b32_e32 v60, v178                                    // 000000007B1C: 7E7803B2
	v_mov_b32_e32 v72, v178                                    // 000000007B20: 7E9003B2
	v_mov_b32_e32 v61, v178                                    // 000000007B24: 7E7A03B2
	v_mov_b32_e32 v73, v178                                    // 000000007B28: 7E9203B2
	v_mov_b32_e32 v62, v178                                    // 000000007B2C: 7E7C03B2
	v_mov_b32_e32 v74, v178                                    // 000000007B30: 7E9403B2
	v_mov_b32_e32 v63, v178                                    // 000000007B34: 7E7E03B2
	v_mov_b32_e32 v75, v178                                    // 000000007B38: 7E9603B2
	s_branch label_0F6B                                        // 000000007B3C: BF820000

0000000000007b40 <label_0F6B>:
	s_addk_i32 s74, 0x1                                        // 000000007B40: B74A0001
	s_waitcnt lgkmcnt(8)                                       // 000000007B44: BF8CC87F
	s_barrier                                                  // 000000007B48: BF8A0000
	v_mfma_f32_16x16x16_f16 v[76:79], v[108:109], a[72:73], 0  // 000000007B4C: D3CD004C 1202916C
	v_fma_f32 v52, v52, s57, -v140                             // 000000007B54: D1CB0034 86307334
	v_fma_f32 v53, v53, s57, -v141                             // 000000007B5C: D1CB0035 86347335
	v_fma_f32 v54, v54, s57, -v142                             // 000000007B64: D1CB0036 86387336
	v_fma_f32 v55, v55, s57, -v143                             // 000000007B6C: D1CB0037 863C7337
	v_fma_f32 v56, v56, s57, -v140                             // 000000007B74: D1CB0038 86307338
	v_fma_f32 v57, v57, s57, -v141                             // 000000007B7C: D1CB0039 86347339
	v_mfma_f32_16x16x16_f16 v[76:79], v[110:111], a[74:75], v[76:79]// 000000007B84: D3CD004C 1532956E
	ds_read_b128 a[96:99], v14 offset:4352                     // 000000007B8C: DBFE1100 6000000E
	ds_read_b128 a[100:103], v14 offset:4864                   // 000000007B94: DBFE1300 6400000E
	v_mfma_f32_16x16x16_f16 v[76:79], v[112:113], a[76:77], v[76:79]// 000000007B9C: D3CD004C 15329970
	v_fma_f32 v58, v58, s57, -v142                             // 000000007BA4: D1CB003A 8638733A
	v_fma_f32 v59, v59, s57, -v143                             // 000000007BAC: D1CB003B 863C733B
	v_fma_f32 v60, v60, s57, -v140                             // 000000007BB4: D1CB003C 8630733C
	v_fma_f32 v61, v61, s57, -v141                             // 000000007BBC: D1CB003D 8634733D
	v_fma_f32 v62, v62, s57, -v142                             // 000000007BC4: D1CB003E 8638733E
	v_fma_f32 v63, v63, s57, -v143                             // 000000007BCC: D1CB003F 863C733F
	v_mfma_f32_16x16x16_f16 v[76:79], v[114:115], a[78:79], v[76:79]// 000000007BD4: D3CD004C 15329D72
	v_fma_f32 v64, v64, s57, -v144                             // 000000007BDC: D1CB0040 86407340
	v_fma_f32 v65, v65, s57, -v145                             // 000000007BE4: D1CB0041 86447341
	v_fma_f32 v66, v66, s57, -v146                             // 000000007BEC: D1CB0042 86487342
	v_fma_f32 v67, v67, s57, -v147                             // 000000007BF4: D1CB0043 864C7343
	v_fma_f32 v68, v68, s57, -v144                             // 000000007BFC: D1CB0044 86407344
	v_fma_f32 v69, v69, s57, -v145                             // 000000007C04: D1CB0045 86447345
	v_mfma_f32_16x16x16_f16 v[80:83], v[108:109], a[80:81], 0  // 000000007C0C: D3CD0050 1202A16C
	v_fma_f32 v70, v70, s57, -v146                             // 000000007C14: D1CB0046 86487346
	v_fma_f32 v71, v71, s57, -v147                             // 000000007C1C: D1CB0047 864C7347
	v_fma_f32 v72, v72, s57, -v144                             // 000000007C24: D1CB0048 86407348
	v_fma_f32 v73, v73, s57, -v145                             // 000000007C2C: D1CB0049 86447349
	v_fma_f32 v74, v74, s57, -v146                             // 000000007C34: D1CB004A 8648734A
	v_fma_f32 v75, v75, s57, -v147                             // 000000007C3C: D1CB004B 864C734B
	v_mfma_f32_16x16x16_f16 v[80:83], v[110:111], a[82:83], v[80:83]// 000000007C44: D3CD0050 1542A56E
	ds_read_b128 a[104:107], v14 offset:6528                   // 000000007C4C: DBFE1980 6800000E
	ds_read_b128 a[108:111], v14 offset:7040                   // 000000007C54: DBFE1B80 6C00000E
	v_mfma_f32_16x16x16_f16 v[80:83], v[112:113], a[84:85], v[80:83]// 000000007C5C: D3CD0050 1542A970
	v_exp_f32_e32 v52, v52                                     // 000000007C64: 7E684134
	v_exp_f32_e32 v53, v53                                     // 000000007C68: 7E6A4135
	v_mfma_f32_16x16x16_f16 v[80:83], v[114:115], a[86:87], v[80:83]// 000000007C6C: D3CD0050 1542AD72
	v_exp_f32_e32 v54, v54                                     // 000000007C74: 7E6C4136
	v_exp_f32_e32 v55, v55                                     // 000000007C78: 7E6E4137
	v_mfma_f32_16x16x16_f16 v[84:87], v[108:109], a[88:89], 0  // 000000007C7C: D3CD0054 1202B16C
	v_exp_f32_e32 v56, v56                                     // 000000007C84: 7E704138
	v_exp_f32_e32 v57, v57                                     // 000000007C88: 7E724139
	v_mfma_f32_16x16x16_f16 v[84:87], v[110:111], a[90:91], v[84:87]// 000000007C8C: D3CD0054 1552B56E
	ds_read_b64 v[156:157], v21 offset:31232                   // 000000007C94: D8EC7A00 9C000015
	ds_read_b64 v[158:159], v21 offset:33280                   // 000000007C9C: D8EC8200 9E000015
	v_mfma_f32_16x16x16_f16 v[84:87], v[112:113], a[92:93], v[84:87]// 000000007CA4: D3CD0054 1552B970
	v_exp_f32_e32 v58, v58                                     // 000000007CAC: 7E74413A
	v_exp_f32_e32 v59, v59                                     // 000000007CB0: 7E76413B
	v_mfma_f32_16x16x16_f16 v[84:87], v[114:115], a[94:95], v[84:87]// 000000007CB4: D3CD0054 1552BD72
	ds_read_b64 v[160:161], v21 offset:35328                   // 000000007CBC: D8EC8A00 A0000015
	ds_read_b64 v[162:163], v21 offset:37376                   // 000000007CC4: D8EC9200 A2000015
	v_mfma_f32_16x16x16_f16 v[88:91], v[116:117], a[72:73], 0  // 000000007CCC: D3CD0058 12029174
	v_exp_f32_e32 v60, v60                                     // 000000007CD4: 7E78413C
	v_exp_f32_e32 v61, v61                                     // 000000007CD8: 7E7A413D
	v_mfma_f32_16x16x16_f16 v[88:91], v[118:119], a[74:75], v[88:91]// 000000007CDC: D3CD0058 15629576
	v_exp_f32_e32 v62, v62                                     // 000000007CE4: 7E7C413E
	v_exp_f32_e32 v63, v63                                     // 000000007CE8: 7E7E413F
	v_mfma_f32_16x16x16_f16 v[88:91], v[120:121], a[76:77], v[88:91]// 000000007CEC: D3CD0058 15629978
	v_exp_f32_e32 v64, v64                                     // 000000007CF4: 7E804140
	v_exp_f32_e32 v65, v65                                     // 000000007CF8: 7E824141
	v_mfma_f32_16x16x16_f16 v[88:91], v[122:123], a[78:79], v[88:91]// 000000007CFC: D3CD0058 15629D7A
	v_exp_f32_e32 v66, v66                                     // 000000007D04: 7E844142
	v_exp_f32_e32 v67, v67                                     // 000000007D08: 7E864143
	v_mfma_f32_16x16x16_f16 v[92:95], v[116:117], a[80:81], 0  // 000000007D0C: D3CD005C 1202A174
	v_exp_f32_e32 v68, v68                                     // 000000007D14: 7E884144
	v_exp_f32_e32 v69, v69                                     // 000000007D18: 7E8A4145
	v_mfma_f32_16x16x16_f16 v[92:95], v[118:119], a[82:83], v[92:95]// 000000007D1C: D3CD005C 1572A576
	v_exp_f32_e32 v70, v70                                     // 000000007D24: 7E8C4146
	v_exp_f32_e32 v71, v71                                     // 000000007D28: 7E8E4147
	v_mfma_f32_16x16x16_f16 v[92:95], v[120:121], a[84:85], v[92:95]// 000000007D2C: D3CD005C 1572A978
	v_exp_f32_e32 v72, v72                                     // 000000007D34: 7E904148
	v_exp_f32_e32 v73, v73                                     // 000000007D38: 7E924149
	v_mfma_f32_16x16x16_f16 v[92:95], v[122:123], a[86:87], v[92:95]// 000000007D3C: D3CD005C 1572AD7A
	v_exp_f32_e32 v74, v74                                     // 000000007D44: 7E94414A
	v_exp_f32_e32 v75, v75                                     // 000000007D48: 7E96414B
	v_mfma_f32_16x16x16_f16 v[96:99], v[116:117], a[88:89], 0  // 000000007D4C: D3CD0060 1202B174
	v_cvt_pkrtz_f16_f32 v164, v52, v53                         // 000000007D54: D29600A4 00026B34
	v_cvt_pkrtz_f16_f32 v165, v54, v55                         // 000000007D5C: D29600A5 00026F36
	v_cvt_pkrtz_f16_f32 v166, v56, v57                         // 000000007D64: D29600A6 00027338
	v_cvt_pkrtz_f16_f32 v167, v58, v59                         // 000000007D6C: D29600A7 0002773A
	v_cvt_pkrtz_f16_f32 v168, v60, v61                         // 000000007D74: D29600A8 00027B3C
	v_cvt_pkrtz_f16_f32 v169, v62, v63                         // 000000007D7C: D29600A9 00027F3E
	v_mfma_f32_16x16x16_f16 v[96:99], v[118:119], a[90:91], v[96:99]// 000000007D84: D3CD0060 1582B576
	v_cvt_pkrtz_f16_f32 v170, v64, v65                         // 000000007D8C: D29600AA 00028340
	v_cvt_pkrtz_f16_f32 v171, v66, v67                         // 000000007D94: D29600AB 00028742
	v_cvt_pkrtz_f16_f32 v172, v68, v69                         // 000000007D9C: D29600AC 00028B44
	v_cvt_pkrtz_f16_f32 v173, v70, v71                         // 000000007DA4: D29600AD 00028F46
	v_cvt_pkrtz_f16_f32 v174, v72, v73                         // 000000007DAC: D29600AE 00029348
	v_cvt_pkrtz_f16_f32 v175, v74, v75                         // 000000007DB4: D29600AF 0002974A
	v_mfma_f32_16x16x16_f16 v[96:99], v[120:121], a[92:93], v[96:99]// 000000007DBC: D3CD0060 1582B978
	v_add_u32_e32 v6, s66, v6                                  // 000000007DC4: 680C0C42
	v_add_u32_e32 v7, s66, v7                                  // 000000007DC8: 680E0E42
	v_add_u32_e32 v8, s66, v8                                  // 000000007DCC: 68101042
	v_add_u32_e32 v9, s66, v9                                  // 000000007DD0: 68121242
	v_mfma_f32_16x16x16_f16 v[96:99], v[122:123], a[94:95], v[96:99]// 000000007DD4: D3CD0060 1582BD7A
	s_waitcnt lgkmcnt(0)                                       // 000000007DDC: BF8CC07F
	s_barrier                                                  // 000000007DE0: BF8A0000
	v_mfma_f32_16x16x16_f16 v[180:183], v[124:125], v[164:165], v[180:183]// 000000007DE4: D3CD00B4 06D3497C
	v_subrev_f32_dpp v76, v176, v76 quad_perm:[0,0,0,0] row_mask:0xf bank_mask:0xf// 000000007DEC: 069898FA FF0000B0
	v_subrev_f32_dpp v77, v176, v77 quad_perm:[1,1,1,1] row_mask:0xf bank_mask:0xf// 000000007DF4: 069A9AFA FF0055B0
	v_subrev_f32_dpp v78, v176, v78 quad_perm:[2,2,2,2] row_mask:0xf bank_mask:0xf// 000000007DFC: 069C9CFA FF00AAB0
	v_subrev_f32_dpp v79, v176, v79 quad_perm:[3,3,3,3] row_mask:0xf bank_mask:0xf// 000000007E04: 069E9EFA FF00FFB0
	v_subrev_f32_dpp v80, v176, v80 quad_perm:[0,0,0,0] row_mask:0xf bank_mask:0xf// 000000007E0C: 06A0A0FA FF0000B0
	v_subrev_f32_dpp v81, v176, v81 quad_perm:[1,1,1,1] row_mask:0xf bank_mask:0xf// 000000007E14: 06A2A2FA FF0055B0
	v_mfma_f32_16x16x16_f16 v[184:187], v[126:127], v[164:165], v[184:187]// 000000007E1C: D3CD00B8 06E3497E
	v_subrev_f32_dpp v82, v176, v82 quad_perm:[2,2,2,2] row_mask:0xf bank_mask:0xf// 000000007E24: 06A4A4FA FF00AAB0
	v_subrev_f32_dpp v83, v176, v83 quad_perm:[3,3,3,3] row_mask:0xf bank_mask:0xf// 000000007E2C: 06A6A6FA FF00FFB0
	v_subrev_f32_dpp v84, v176, v84 quad_perm:[0,0,0,0] row_mask:0xf bank_mask:0xf// 000000007E34: 06A8A8FA FF0000B0
	v_subrev_f32_dpp v85, v176, v85 quad_perm:[1,1,1,1] row_mask:0xf bank_mask:0xf// 000000007E3C: 06AAAAFA FF0055B0
	v_subrev_f32_dpp v86, v176, v86 quad_perm:[2,2,2,2] row_mask:0xf bank_mask:0xf// 000000007E44: 06ACACFA FF00AAB0
	v_subrev_f32_dpp v87, v176, v87 quad_perm:[3,3,3,3] row_mask:0xf bank_mask:0xf// 000000007E4C: 06AEAEFA FF00FFB0
	v_mfma_f32_16x16x16_f16 v[188:191], v[128:129], v[164:165], v[188:191]// 000000007E54: D3CD00BC 06F34980
	v_mul_f32_e32 v76, v52, v76                                // 000000007E5C: 0A989934
	v_mul_f32_e32 v77, v53, v77                                // 000000007E60: 0A9A9B35
	v_mul_f32_e32 v78, v54, v78                                // 000000007E64: 0A9C9D36
	v_mul_f32_e32 v79, v55, v79                                // 000000007E68: 0A9E9F37
	v_mul_f32_e32 v80, v56, v80                                // 000000007E6C: 0AA0A138
	v_mul_f32_e32 v81, v57, v81                                // 000000007E70: 0AA2A339
	v_mfma_f32_16x16x16_f16 v[192:195], v[130:131], v[164:165], v[192:195]// 000000007E74: D3CD00C0 07034982
	v_mul_f32_e32 v82, v58, v82                                // 000000007E7C: 0AA4A53A
	v_mul_f32_e32 v83, v59, v83                                // 000000007E80: 0AA6A73B
	v_mul_f32_e32 v84, v60, v84                                // 000000007E84: 0AA8A93C
	v_mul_f32_e32 v85, v61, v85                                // 000000007E88: 0AAAAB3D
	v_mul_f32_e32 v86, v62, v86                                // 000000007E8C: 0AACAD3E
	v_mul_f32_e32 v87, v63, v87                                // 000000007E90: 0AAEAF3F
	v_mfma_f32_16x16x16_f16 v[196:199], v[124:125], v[166:167], v[196:199]// 000000007E94: D3CD00C4 07134D7C
	v_cvt_pkrtz_f16_f32 v76, v76, v77                          // 000000007E9C: D296004C 00029B4C
	v_cvt_pkrtz_f16_f32 v77, v78, v79                          // 000000007EA4: D296004D 00029F4E
	v_cvt_pkrtz_f16_f32 v78, v80, v81                          // 000000007EAC: D296004E 0002A350
	v_cvt_pkrtz_f16_f32 v79, v82, v83                          // 000000007EB4: D296004F 0002A752
	v_cvt_pkrtz_f16_f32 v80, v84, v85                          // 000000007EBC: D2960050 0002AB54
	v_cvt_pkrtz_f16_f32 v81, v86, v87                          // 000000007EC4: D2960051 0002AF56
	v_mfma_f32_16x16x16_f16 v[200:203], v[126:127], v[166:167], v[200:203]// 000000007ECC: D3CD00C8 07234D7E
	v_mov_b32_dpp v18, v76 quad_perm:[1,0,3,2] row_mask:0xf bank_mask:0xf// 000000007ED4: 7E2402FA FF00B14C
	v_perm_b32 v52, v18, v76, v17                              // 000000007EDC: D1ED0034 04469912
	v_mov_b32_dpp v18, v77 quad_perm:[1,0,3,2] row_mask:0xf bank_mask:0xf// 000000007EE4: 7E2402FA FF00B14D
	v_perm_b32 v53, v18, v77, v17                              // 000000007EEC: D1ED0035 04469B12
	v_mov_b32_dpp v18, v78 quad_perm:[1,0,3,2] row_mask:0xf bank_mask:0xf// 000000007EF4: 7E2402FA FF00B14E
	v_perm_b32 v54, v18, v78, v17                              // 000000007EFC: D1ED0036 04469D12
	v_mfma_f32_16x16x16_f16 v[204:207], v[128:129], v[166:167], v[204:207]// 000000007F04: D3CD00CC 07334D80
	ds_write_b32 v20, v52 offset:17408                         // 000000007F0C: D81A4400 00003414
	ds_write_b32 v20, v53 offset:17952                         // 000000007F14: D81A4620 00003514
	v_mfma_f32_16x16x16_f16 v[208:211], v[130:131], v[166:167], v[208:211]// 000000007F1C: D3CD00D0 07434D82
	v_mov_b32_dpp v18, v79 quad_perm:[1,0,3,2] row_mask:0xf bank_mask:0xf// 000000007F24: 7E2402FA FF00B14F
	v_perm_b32 v55, v18, v79, v17                              // 000000007F2C: D1ED0037 04469F12
	v_mov_b32_dpp v18, v80 quad_perm:[1,0,3,2] row_mask:0xf bank_mask:0xf// 000000007F34: 7E2402FA FF00B150
	v_perm_b32 v56, v18, v80, v17                              // 000000007F3C: D1ED0038 0446A112
	v_mov_b32_dpp v18, v81 quad_perm:[1,0,3,2] row_mask:0xf bank_mask:0xf// 000000007F44: 7E2402FA FF00B151
	v_perm_b32 v57, v18, v81, v17                              // 000000007F4C: D1ED0039 0446A312
	v_mfma_f32_16x16x16_f16 v[212:215], v[124:125], v[168:169], v[212:215]// 000000007F54: D3CD00D4 0753517C
	ds_write_b32 v20, v54 offset:19712                         // 000000007F5C: D81A4D00 00003614
	ds_write_b32 v20, v55 offset:20256                         // 000000007F64: D81A4F20 00003714
	v_mfma_f32_16x16x16_f16 v[216:219], v[126:127], v[168:169], v[216:219]// 000000007F6C: D3CD00D8 0763517E
	v_subrev_f32_dpp v88, v177, v88 quad_perm:[0,0,0,0] row_mask:0xf bank_mask:0xf// 000000007F74: 06B0B0FA FF0000B1
	v_subrev_f32_dpp v89, v177, v89 quad_perm:[1,1,1,1] row_mask:0xf bank_mask:0xf// 000000007F7C: 06B2B2FA FF0055B1
	v_subrev_f32_dpp v90, v177, v90 quad_perm:[2,2,2,2] row_mask:0xf bank_mask:0xf// 000000007F84: 06B4B4FA FF00AAB1
	v_subrev_f32_dpp v91, v177, v91 quad_perm:[3,3,3,3] row_mask:0xf bank_mask:0xf// 000000007F8C: 06B6B6FA FF00FFB1
	v_subrev_f32_dpp v92, v177, v92 quad_perm:[0,0,0,0] row_mask:0xf bank_mask:0xf// 000000007F94: 06B8B8FA FF0000B1
	v_subrev_f32_dpp v93, v177, v93 quad_perm:[1,1,1,1] row_mask:0xf bank_mask:0xf// 000000007F9C: 06BABAFA FF0055B1
	v_mfma_f32_16x16x16_f16 v[220:223], v[128:129], v[168:169], v[220:223]// 000000007FA4: D3CD00DC 07735180
	ds_write_b32 v20, v56 offset:22016                         // 000000007FAC: D81A5600 00003814
	ds_write_b32 v20, v57 offset:22560                         // 000000007FB4: D81A5820 00003914
	v_mfma_f32_16x16x16_f16 v[224:227], v[130:131], v[168:169], v[224:227]// 000000007FBC: D3CD00E0 07835182
	v_subrev_f32_dpp v94, v177, v94 quad_perm:[2,2,2,2] row_mask:0xf bank_mask:0xf// 000000007FC4: 06BCBCFA FF00AAB1
	v_subrev_f32_dpp v95, v177, v95 quad_perm:[3,3,3,3] row_mask:0xf bank_mask:0xf// 000000007FCC: 06BEBEFA FF00FFB1
	v_subrev_f32_dpp v96, v177, v96 quad_perm:[0,0,0,0] row_mask:0xf bank_mask:0xf// 000000007FD4: 06C0C0FA FF0000B1
	v_subrev_f32_dpp v97, v177, v97 quad_perm:[1,1,1,1] row_mask:0xf bank_mask:0xf// 000000007FDC: 06C2C2FA FF0055B1
	v_subrev_f32_dpp v98, v177, v98 quad_perm:[2,2,2,2] row_mask:0xf bank_mask:0xf// 000000007FE4: 06C4C4FA FF00AAB1
	v_subrev_f32_dpp v99, v177, v99 quad_perm:[3,3,3,3] row_mask:0xf bank_mask:0xf// 000000007FEC: 06C6C6FA FF00FFB1
	v_mfma_f32_16x16x16_f16 v[180:183], v[132:133], v[170:171], v[180:183]// 000000007FF4: D3CD00B4 06D35584
	v_mul_f32_e32 v88, v64, v88                                // 000000007FFC: 0AB0B140
	v_mul_f32_e32 v89, v65, v89                                // 000000008000: 0AB2B341
	v_mul_f32_e32 v90, v66, v90                                // 000000008004: 0AB4B542
	v_mul_f32_e32 v91, v67, v91                                // 000000008008: 0AB6B743
	v_mul_f32_e32 v92, v68, v92                                // 00000000800C: 0AB8B944
	v_mul_f32_e32 v93, v69, v93                                // 000000008010: 0ABABB45
	v_mfma_f32_16x16x16_f16 v[184:187], v[134:135], v[170:171], v[184:187]// 000000008014: D3CD00B8 06E35586
	v_mul_f32_e32 v94, v70, v94                                // 00000000801C: 0ABCBD46
	v_mul_f32_e32 v95, v71, v95                                // 000000008020: 0ABEBF47
	v_mul_f32_e32 v96, v72, v96                                // 000000008024: 0AC0C148
	v_mul_f32_e32 v97, v73, v97                                // 000000008028: 0AC2C349
	v_mul_f32_e32 v98, v74, v98                                // 00000000802C: 0AC4C54A
	v_mul_f32_e32 v99, v75, v99                                // 000000008030: 0AC6C74B
	v_mfma_f32_16x16x16_f16 v[188:191], v[136:137], v[170:171], v[188:191]// 000000008034: D3CD00BC 06F35588
	v_cvt_pkrtz_f16_f32 v82, v88, v89                          // 00000000803C: D2960052 0002B358
	v_cvt_pkrtz_f16_f32 v83, v90, v91                          // 000000008044: D2960053 0002B75A
	v_cvt_pkrtz_f16_f32 v84, v92, v93                          // 00000000804C: D2960054 0002BB5C
	v_cvt_pkrtz_f16_f32 v85, v94, v95                          // 000000008054: D2960055 0002BF5E
	v_cvt_pkrtz_f16_f32 v86, v96, v97                          // 00000000805C: D2960056 0002C360
	v_cvt_pkrtz_f16_f32 v87, v98, v99                          // 000000008064: D2960057 0002C762
	v_mfma_f32_16x16x16_f16 v[192:195], v[138:139], v[170:171], v[192:195]// 00000000806C: D3CD00C0 0703558A
	v_mov_b32_dpp v18, v82 quad_perm:[1,0,3,2] row_mask:0xf bank_mask:0xf// 000000008074: 7E2402FA FF00B152
	v_perm_b32 v58, v18, v82, v17                              // 00000000807C: D1ED003A 0446A512
	v_mov_b32_dpp v18, v83 quad_perm:[1,0,3,2] row_mask:0xf bank_mask:0xf// 000000008084: 7E2402FA FF00B153
	v_perm_b32 v59, v18, v83, v17                              // 00000000808C: D1ED003B 0446A712
	v_mov_b32_dpp v18, v84 quad_perm:[1,0,3,2] row_mask:0xf bank_mask:0xf// 000000008094: 7E2402FA FF00B154
	v_perm_b32 v60, v18, v84, v17                              // 00000000809C: D1ED003C 0446A912
	v_mfma_f32_16x16x16_f16 v[196:199], v[132:133], v[172:173], v[196:199]// 0000000080A4: D3CD00C4 07135984
	ds_write_b32 v20, v58 offset:24320                         // 0000000080AC: D81A5F00 00003A14
	ds_write_b32 v20, v59 offset:24864                         // 0000000080B4: D81A6120 00003B14
	v_mfma_f32_16x16x16_f16 v[200:203], v[134:135], v[172:173], v[200:203]// 0000000080BC: D3CD00C8 07235986
	v_mov_b32_dpp v18, v85 quad_perm:[1,0,3,2] row_mask:0xf bank_mask:0xf// 0000000080C4: 7E2402FA FF00B155
	v_perm_b32 v61, v18, v85, v17                              // 0000000080CC: D1ED003D 0446AB12
	v_mov_b32_dpp v18, v86 quad_perm:[1,0,3,2] row_mask:0xf bank_mask:0xf// 0000000080D4: 7E2402FA FF00B156
	v_perm_b32 v62, v18, v86, v17                              // 0000000080DC: D1ED003E 0446AD12
	v_mov_b32_dpp v18, v87 quad_perm:[1,0,3,2] row_mask:0xf bank_mask:0xf// 0000000080E4: 7E2402FA FF00B157
	v_perm_b32 v63, v18, v87, v17                              // 0000000080EC: D1ED003F 0446AF12
	v_mfma_f32_16x16x16_f16 v[204:207], v[136:137], v[172:173], v[204:207]// 0000000080F4: D3CD00CC 07335988
	ds_write_b32 v20, v60 offset:26624                         // 0000000080FC: D81A6800 00003C14
	ds_write_b32 v20, v61 offset:27168                         // 000000008104: D81A6A20 00003D14
	ds_write_b32 v20, v62 offset:28928                         // 00000000810C: D81A7100 00003E14
	ds_write_b32 v20, v63 offset:29472                         // 000000008114: D81A7320 00003F14
	v_mfma_f32_16x16x16_f16 v[208:211], v[138:139], v[172:173], v[208:211]// 00000000811C: D3CD00D0 0743598A
	v_mfma_f32_16x16x16_f16 v[212:215], v[132:133], v[174:175], v[212:215]// 000000008124: D3CD00D4 07535D84
	ds_write_b32 v15, v100 offset:4352                         // 00000000812C: D81A1100 0000640F
	ds_write_b32 v15, v101 offset:5408                         // 000000008134: D81A1520 0000650F
	v_mfma_f32_16x16x16_f16 v[216:219], v[134:135], v[174:175], v[216:219]// 00000000813C: D3CD00D8 07635D86
	v_mfma_f32_16x16x16_f16 v[220:223], v[136:137], v[174:175], v[220:223]// 000000008144: D3CD00DC 07735D88
	ds_write_b32 v15, v102 offset:6528                         // 00000000814C: D81A1980 0000660F
	ds_write_b32 v15, v103 offset:7584                         // 000000008154: D81A1DA0 0000670F
	v_mfma_f32_16x16x16_f16 v[224:227], v[138:139], v[174:175], v[224:227]// 00000000815C: D3CD00E0 07835D8A
	s_nop 0                                                    // 000000008164: BF800000
	s_nop 0                                                    // 000000008168: BF800000
	s_nop 0                                                    // 00000000816C: BF800000
	s_barrier                                                  // 000000008170: BF8A0000
	v_mfma_f32_16x16x16_f16 a[112:115], a[96:97], v[76:77], a[112:115]// 000000008174: D3CD8070 0DC29960
	ds_read_b32 v140, v23 offset:39936                         // 00000000817C: D86C9C00 8C000017
	ds_read_b32 v144, v23 offset:40000                         // 000000008184: D86C9C40 90000017
	ds_read_b32 v176, v23 offset:40192                         // 00000000818C: D86C9D00 B0000017
	ds_read_b32 v177, v23 offset:40256                         // 000000008194: D86C9D40 B1000017
	v_mfma_f32_16x16x16_f16 a[116:119], a[98:99], v[76:77], a[116:119]// 00000000819C: D3CD8074 0DD29962
	buffer_atomic_add_f32 v156, v6, s[32:35], 0 idxen          // 0000000081A4: E1342000 80089C06
	v_mfma_f32_16x16x16_f16 a[120:123], a[100:101], v[76:77], a[120:123]// 0000000081AC: D3CD8078 0DE29964
	s_waitcnt lgkmcnt(8)                                       // 0000000081B4: BF8CC87F
	s_barrier                                                  // 0000000081B8: BF8A0000
	v_mfma_f32_16x16x16_f16 a[124:127], a[102:103], v[76:77], a[124:127]// 0000000081BC: D3CD807C 0DF29966
	v_mfma_f32_16x16x16_f16 a[128:131], a[96:97], v[78:79], a[128:131]// 0000000081C4: D3CD8080 0E029D60
	ds_read_b128 v[52:55], v19 offset:17408                    // 0000000081CC: D9FE4400 34000013
	v_mfma_f32_16x16x16_f16 a[132:135], a[98:99], v[78:79], a[132:135]// 0000000081D4: D3CD8084 0E129D62
	v_mfma_f32_16x16x16_f16 a[136:139], a[100:101], v[78:79], a[136:139]// 0000000081DC: D3CD8088 0E229D64
	ds_read_b128 v[56:59], v19 offset:18560                    // 0000000081E4: D9FE4880 38000013
	v_mfma_f32_16x16x16_f16 a[140:143], a[102:103], v[78:79], a[140:143]// 0000000081EC: D3CD808C 0E329D66
	buffer_atomic_add_f32 v157, v7, s[32:35], 0 idxen          // 0000000081F4: E1342000 80089D07
	v_mfma_f32_16x16x16_f16 a[144:147], a[96:97], v[80:81], a[144:147]// 0000000081FC: D3CD8090 0E42A160
	ds_read_b128 v[60:63], v19 offset:19712                    // 000000008204: D9FE4D00 3C000013
	v_mfma_f32_16x16x16_f16 a[148:151], a[98:99], v[80:81], a[148:151]// 00000000820C: D3CD8094 0E52A162
	v_mfma_f32_16x16x16_f16 a[152:155], a[100:101], v[80:81], a[152:155]// 000000008214: D3CD8098 0E62A164
	ds_read_b128 v[64:67], v19 offset:20864                    // 00000000821C: D9FE5180 40000013
	v_mfma_f32_16x16x16_f16 a[156:159], a[102:103], v[80:81], a[156:159]// 000000008224: D3CD809C 0E72A166
	v_mfma_f32_16x16x16_f16 a[112:115], a[104:105], v[82:83], a[112:115]// 00000000822C: D3CD8070 0DC2A568
	ds_read_b128 v[68:71], v19 offset:22016                    // 000000008234: D9FE5600 44000013
	v_mfma_f32_16x16x16_f16 a[116:119], a[106:107], v[82:83], a[116:119]// 00000000823C: D3CD8074 0DD2A56A
	buffer_atomic_add_f32 v158, v6, s[32:35], 0 idxen offset:128// 000000008244: E1342080 80089E06
	v_mfma_f32_16x16x16_f16 a[120:123], a[108:109], v[82:83], a[120:123]// 00000000824C: D3CD8078 0DE2A56C
	ds_read_b128 v[72:75], v19 offset:23168                    // 000000008254: D9FE5A80 48000013
	v_mfma_f32_16x16x16_f16 a[124:127], a[110:111], v[82:83], a[124:127]// 00000000825C: D3CD807C 0DF2A56E
	v_mfma_f32_16x16x16_f16 a[128:131], a[104:105], v[84:85], a[128:131]// 000000008264: D3CD8080 0E02A968
	ds_write_b32 v15, v104 offset:13056                        // 00000000826C: D81A3300 0000680F
	v_mfma_f32_16x16x16_f16 a[132:135], a[106:107], v[84:85], a[132:135]// 000000008274: D3CD8084 0E12A96A
	v_mfma_f32_16x16x16_f16 a[136:139], a[108:109], v[84:85], a[136:139]// 00000000827C: D3CD8088 0E22A96C
	ds_write_b32 v15, v105 offset:14112                        // 000000008284: D81A3720 0000690F
	v_mfma_f32_16x16x16_f16 a[140:143], a[110:111], v[84:85], a[140:143]// 00000000828C: D3CD808C 0E32A96E
	buffer_atomic_add_f32 v159, v7, s[32:35], 0 idxen offset:128// 000000008294: E1342080 80089F07
	v_mfma_f32_16x16x16_f16 a[144:147], a[104:105], v[86:87], a[144:147]// 00000000829C: D3CD8090 0E42AD68
	ds_write_b32 v15, v106 offset:15232                        // 0000000082A4: D81A3B80 00006A0F
	v_mfma_f32_16x16x16_f16 a[148:151], a[106:107], v[86:87], a[148:151]// 0000000082AC: D3CD8094 0E52AD6A
	v_mfma_f32_16x16x16_f16 a[152:155], a[108:109], v[86:87], a[152:155]// 0000000082B4: D3CD8098 0E62AD6C
	ds_write_b32 v15, v107 offset:16288                        // 0000000082BC: D81A3FA0 00006B0F
	v_mfma_f32_16x16x16_f16 a[156:159], a[110:111], v[86:87], a[156:159]// 0000000082C4: D3CD809C 0E72AD6E
	s_waitcnt vmcnt(8) lgkmcnt(4)                              // 0000000082CC: BF8C0478
	s_barrier                                                  // 0000000082D0: BF8A0000
	v_mfma_f32_16x16x16_f16 v[148:151], v[52:53], a[24:25], 0  // 0000000082D4: D3CD0094 12023134
	ds_read_b128 a[96:99], v12                                 // 0000000082DC: DBFE0000 6000000C
	buffer_load_dword v40, v1, s[8:11], 0 idxen                // 0000000082E4: E0502000 80022801
	v_mfma_f32_16x16x16_f16 v[148:151], v[54:55], a[28:29], v[148:151]// 0000000082EC: D3CD0094 16523936
	v_mul_f32_e32 v140, s48, v140                              // 0000000082F4: 0B191830
	v_mul_f32_e32 v144, s48, v144                              // 0000000082F8: 0B212030
	s_nop 0                                                    // 0000000082FC: BF800000
	v_mfma_f32_16x16x16_f16 v[148:151], v[56:57], a[32:33], v[148:151]// 000000008300: D3CD0094 16524138
	ds_read_b128 a[100:103], v12 offset:512                    // 000000008308: DBFE0200 6400000C
	buffer_load_dword v41, v2, s[8:11], 0 idxen                // 000000008310: E0502000 80022902
	v_mfma_f32_16x16x16_f16 v[148:151], v[58:59], a[36:37], v[148:151]// 000000008318: D3CD0094 1652493A
	v_mfma_f32_16x16x16_f16 v[148:151], v[60:61], a[40:41], v[148:151]// 000000008320: D3CD0094 1652513C
	ds_read_b128 a[104:107], v12 offset:2176                   // 000000008328: DBFE0880 6800000C
	buffer_load_dword v42, v3, s[8:11], 0 idxen                // 000000008330: E0502000 80022A03
	v_mfma_f32_16x16x16_f16 v[148:151], v[62:63], a[44:45], v[148:151]// 000000008338: D3CD0094 1652593E
	v_perm_b32 v100, v37, v36, s63                             // 000000008340: D1ED0064 00FE4925
	v_perm_b32 v101, v37, v36, s64                             // 000000008348: D1ED0065 01024925
	v_mfma_f32_16x16x16_f16 v[148:151], v[64:65], a[48:49], v[148:151]// 000000008350: D3CD0094 16526140
	ds_read_b128 a[108:111], v12 offset:2688                   // 000000008358: DBFE0A80 6C00000C
	buffer_load_dword v43, v4, s[8:11], 0 idxen                // 000000008360: E0502000 80022B04
	v_mfma_f32_16x16x16_f16 v[148:151], v[66:67], a[52:53], v[148:151]// 000000008368: D3CD0094 16526942
	v_perm_b32 v102, v39, v38, s63                             // 000000008370: D1ED0066 00FE4D27
	v_perm_b32 v103, v39, v38, s64                             // 000000008378: D1ED0067 01024D27
	v_mfma_f32_16x16x16_f16 v[148:151], v[68:69], a[56:57], v[148:151]// 000000008380: D3CD0094 16527144
	ds_read_b128 v[108:111], v12 offset:8704                   // 000000008388: D9FE2200 6C00000C
	buffer_load_dword v48, v228, s[20:23], 0 idxen             // 000000008390: E0502000 800530E4
	v_mfma_f32_16x16x16_f16 v[148:151], v[70:71], a[60:61], v[148:151]// 000000008398: D3CD0094 16527946
	v_perm_b32 v104, v45, v44, s63                             // 0000000083A0: D1ED0068 00FE592D
	v_perm_b32 v105, v45, v44, s64                             // 0000000083A8: D1ED0069 0102592D
	v_mfma_f32_16x16x16_f16 v[148:151], v[72:73], a[64:65], v[148:151]// 0000000083B0: D3CD0094 16528148
	ds_read_b128 v[112:115], v12 offset:9216                   // 0000000083B8: D9FE2400 7000000C
	buffer_load_dword v49, v229, s[20:23], 0 idxen             // 0000000083C0: E0502000 800531E5
	v_mfma_f32_16x16x16_f16 v[148:151], v[74:75], a[68:69], v[148:151]// 0000000083C8: D3CD0094 1652894A
	v_perm_b32 v106, v47, v46, s63                             // 0000000083D0: D1ED006A 00FE5D2F
	v_perm_b32 v107, v47, v46, s64                             // 0000000083D8: D1ED006B 01025D2F
	v_mfma_f32_16x16x16_f16 v[152:155], v[52:53], a[26:27], 0  // 0000000083E0: D3CD0098 12023534
	ds_read_b128 v[116:119], v12 offset:10880                  // 0000000083E8: D9FE2A80 7400000C
	buffer_load_dword v50, v230, s[20:23], 0 idxen             // 0000000083F0: E0502000 800532E6
	v_mfma_f32_16x16x16_f16 v[152:155], v[54:55], a[30:31], v[152:155]// 0000000083F8: D3CD0098 16623D36
	v_mov_b32_dpp v143, v140 quad_perm:[3,3,3,3] row_mask:0xf bank_mask:0xf// 000000008400: 7F1E02FA FF00FF8C
	v_mov_b32_dpp v142, v140 quad_perm:[2,2,2,2] row_mask:0xf bank_mask:0xf// 000000008408: 7F1C02FA FF00AA8C
	v_mov_b32_dpp v141, v140 quad_perm:[1,1,1,1] row_mask:0xf bank_mask:0xf// 000000008410: 7F1A02FA FF00558C
	v_mov_b32_dpp v140, v140 quad_perm:[0,0,0,0] row_mask:0xf bank_mask:0xf// 000000008418: 7F1802FA FF00008C
	v_mfma_f32_16x16x16_f16 v[152:155], v[56:57], a[34:35], v[152:155]// 000000008420: D3CD0098 16624538
	ds_read_b128 v[120:123], v12 offset:11392                  // 000000008428: D9FE2C80 7800000C
	buffer_load_dword v51, v231, s[20:23], 0 idxen             // 000000008430: E0502000 800533E7
	v_mfma_f32_16x16x16_f16 v[152:155], v[58:59], a[38:39], v[152:155]// 000000008438: D3CD0098 16624D3A
	v_mov_b32_dpp v147, v144 quad_perm:[3,3,3,3] row_mask:0xf bank_mask:0xf// 000000008440: 7F2602FA FF00FF90
	v_mov_b32_dpp v146, v144 quad_perm:[2,2,2,2] row_mask:0xf bank_mask:0xf// 000000008448: 7F2402FA FF00AA90
	v_mov_b32_dpp v145, v144 quad_perm:[1,1,1,1] row_mask:0xf bank_mask:0xf// 000000008450: 7F2202FA FF005590
	v_mov_b32_dpp v144, v144 quad_perm:[0,0,0,0] row_mask:0xf bank_mask:0xf// 000000008458: 7F2002FA FF000090
	s_add_u32 s60, 0x80, s59                                   // 000000008460: 803C3BFF 00000080
	v_mfma_f32_16x16x16_f16 v[152:155], v[60:61], a[42:43], v[152:155]// 000000008468: D3CD0098 1662553C
	buffer_load_dword v11, s[24:27], 0 idxen lds               // 000000008470: E0512000 8006000B
	v_mfma_f32_16x16x16_f16 v[152:155], v[62:63], a[46:47], v[152:155]// 000000008478: D3CD0098 16625D3E
	s_cmp_lt_u32 s60, s58                                      // 000000008480: BF0A3A3C
	s_cselect_b32 s68, s68, 0                                  // 000000008484: 85448044
	s_cselect_b32 s100, s100, 0                                // 000000008488: 85648064
	s_cselect_b32 s69, s69, 0                                  // 00000000848C: 85458045
	v_mfma_f32_16x16x16_f16 v[152:155], v[64:65], a[50:51], v[152:155]// 000000008490: D3CD0098 16626540
	v_add_u32_e32 v1, s68, v1                                  // 000000008498: 68020244
	v_add_u32_e32 v2, s68, v2                                  // 00000000849C: 68040444
	v_add_u32_e32 v3, s68, v3                                  // 0000000084A0: 68060644
	v_add_u32_e32 v4, s68, v4                                  // 0000000084A4: 68080844
	v_mfma_f32_16x16x16_f16 v[152:155], v[66:67], a[54:55], v[152:155]// 0000000084A8: D3CD0098 16626D42
	v_add_u32_e32 v228, s100, v228                             // 0000000084B0: 69C9C864
	v_add_u32_e32 v229, s100, v229                             // 0000000084B4: 69CBCA64
	v_add_u32_e32 v230, s100, v230                             // 0000000084B8: 69CDCC64
	v_add_u32_e32 v231, s100, v231                             // 0000000084BC: 69CFCE64
	v_mfma_f32_16x16x16_f16 v[152:155], v[68:69], a[58:59], v[152:155]// 0000000084C0: D3CD0098 16627544
	s_mov_b32 m0, s78                                          // 0000000084C8: BEFC004E
	v_add_u32_e32 v11, s69, v11                                // 0000000084CC: 68161645
	v_mfma_f32_16x16x16_f16 v[152:155], v[70:71], a[62:63], v[152:155]// 0000000084D0: D3CD0098 16627D46
	s_cmp_ge_u32 s59, s73                                      // 0000000084D8: BF09493B
	s_cselect_b32 s66, s67, s66                                // 0000000084DC: 85424243
	v_mfma_f32_16x16x16_f16 v[152:155], v[72:73], a[66:67], v[152:155]// 0000000084E0: D3CD0098 16628548
	s_addk_i32 s59, 0x20                                       // 0000000084E8: B73B0020
	s_nop 0                                                    // 0000000084EC: BF800000
	s_cmp_lt_i32 s59, s58                                      // 0000000084F0: BF043A3B
	v_mfma_f32_16x16x16_f16 v[152:155], v[74:75], a[70:71], v[152:155]// 0000000084F4: D3CD0098 16628D4A
	s_cbranch_scc0 label_0E0B                                  // 0000000084FC: BF84FC39
	s_waitcnt lgkmcnt(4)                                       // 000000008500: BF8CC47F
	s_barrier                                                  // 000000008504: BF8A0000
	v_mfma_f32_16x16x16_f16 v[52:55], a[96:97], a[0:1], 0      // 000000008508: D3CD0034 1A020160
	v_mul_f32_e32 v148, s47, v148                              // 000000008510: 0B29282F
	v_mul_f32_e32 v149, s47, v149                              // 000000008514: 0B2B2A2F
	v_mfma_f32_16x16x16_f16 v[52:55], a[98:99], a[2:3], v[52:55]// 000000008518: D3CD0034 1CD20562
	ds_write_b32 v13, v44 offset:8704                          // 000000008520: D81A2200 00002C0D
	ds_write_b32 v13, v45 offset:9760                          // 000000008528: D81A2620 00002D0D
	v_mfma_f32_16x16x16_f16 v[52:55], a[100:101], a[4:5], v[52:55]// 000000008530: D3CD0034 1CD20964
	v_mul_f32_e32 v150, s47, v150                              // 000000008538: 0B2D2C2F
	v_mul_f32_e32 v151, s47, v151                              // 00000000853C: 0B2F2E2F
	v_mfma_f32_16x16x16_f16 v[52:55], a[102:103], a[6:7], v[52:55]// 000000008540: D3CD0034 1CD20D66
	ds_write_b32 v13, v46 offset:10880                         // 000000008548: D81A2A80 00002E0D
	ds_write_b32 v13, v47 offset:11936                         // 000000008550: D81A2EA0 00002F0D
	v_mfma_f32_16x16x16_f16 v[56:59], a[96:97], a[8:9], 0      // 000000008558: D3CD0038 1A021160
	v_mul_f32_e32 v152, s47, v152                              // 000000008560: 0B31302F
	v_mul_f32_e32 v153, s47, v153                              // 000000008564: 0B33322F
	v_mfma_f32_16x16x16_f16 v[56:59], a[98:99], a[10:11], v[56:59]// 000000008568: D3CD0038 1CE21562
	ds_write_b64 v22, v[148:149] offset:31232                  // 000000008570: D89A7A00 00009416
	v_mfma_f32_16x16x16_f16 v[56:59], a[100:101], a[12:13], v[56:59]// 000000008578: D3CD0038 1CE21964
	v_mul_f32_e32 v154, s47, v154                              // 000000008580: 0B35342F
	v_mul_f32_e32 v155, s47, v155                              // 000000008584: 0B37362F
	v_mfma_f32_16x16x16_f16 v[56:59], a[102:103], a[14:15], v[56:59]// 000000008588: D3CD0038 1CE21D66
	ds_write_b64 v22, v[150:151] offset:31744                  // 000000008590: D89A7C00 00009616
	v_mfma_f32_16x16x16_f16 v[60:63], a[96:97], a[16:17], 0    // 000000008598: D3CD003C 1A022160
	buffer_atomic_add_f32 v160, v8, s[32:35], 0 idxen          // 0000000085A0: E1342000 8008A008
	v_mfma_f32_16x16x16_f16 v[60:63], a[98:99], a[18:19], v[60:63]// 0000000085A8: D3CD003C 1CF22562
	ds_write_b64 v22, v[152:153] offset:32256                  // 0000000085B0: D89A7E00 00009816
	v_mfma_f32_16x16x16_f16 v[60:63], a[100:101], a[20:21], v[60:63]// 0000000085B8: D3CD003C 1CF22964
	v_mfma_f32_16x16x16_f16 v[60:63], a[102:103], a[22:23], v[60:63]// 0000000085C0: D3CD003C 1CF22D66
	ds_write_b64 v22, v[154:155] offset:32768                  // 0000000085C8: D89A8000 00009A16
	v_mfma_f32_16x16x16_f16 v[64:67], a[104:105], a[0:1], 0    // 0000000085D0: D3CD0040 1A020168
	buffer_atomic_add_f32 v161, v9, s[32:35], 0 idxen          // 0000000085D8: E1342000 8008A109
	v_mfma_f32_16x16x16_f16 v[64:67], a[106:107], a[2:3], v[64:67]// 0000000085E0: D3CD0040 1D02056A
	ds_read_b128 v[124:127], v14 offset:13056                  // 0000000085E8: D9FE3300 7C00000E
	ds_write_b32 v13, v36                                      // 0000000085F0: D81A0000 0000240D
	v_mfma_f32_16x16x16_f16 v[64:67], a[108:109], a[4:5], v[64:67]// 0000000085F8: D3CD0040 1D02096C
	v_mfma_f32_16x16x16_f16 v[64:67], a[110:111], a[6:7], v[64:67]// 000000008600: D3CD0040 1D020D6E
	v_mfma_f32_16x16x16_f16 v[68:71], a[104:105], a[8:9], 0    // 000000008608: D3CD0044 1A021168
	ds_read_b128 v[128:131], v14 offset:13568                  // 000000008610: D9FE3500 8000000E
	ds_write_b32 v13, v37 offset:1056                          // 000000008618: D81A0420 0000250D
	v_mfma_f32_16x16x16_f16 v[68:71], a[106:107], a[10:11], v[68:71]// 000000008620: D3CD0044 1D12156A
	buffer_atomic_add_f32 v162, v8, s[32:35], 0 idxen offset:128// 000000008628: E1342080 8008A208
	v_mfma_f32_16x16x16_f16 v[68:71], a[108:109], a[12:13], v[68:71]// 000000008630: D3CD0044 1D12196C
	v_mfma_f32_16x16x16_f16 v[68:71], a[110:111], a[14:15], v[68:71]// 000000008638: D3CD0044 1D121D6E
	ds_read_b128 v[132:135], v14 offset:15232                  // 000000008640: D9FE3B80 8400000E
	ds_write_b32 v13, v38 offset:2176                          // 000000008648: D81A0880 0000260D
	v_mfma_f32_16x16x16_f16 v[72:75], a[104:105], a[16:17], 0  // 000000008650: D3CD0048 1A022168
	v_mfma_f32_16x16x16_f16 v[72:75], a[106:107], a[18:19], v[72:75]// 000000008658: D3CD0048 1D22256A
	buffer_atomic_add_f32 v163, v9, s[32:35], 0 idxen offset:128// 000000008660: E1342080 8008A309
	v_mfma_f32_16x16x16_f16 v[72:75], a[108:109], a[20:21], v[72:75]// 000000008668: D3CD0048 1D22296C
	ds_read_b128 v[136:139], v14 offset:15744                  // 000000008670: D9FE3D80 8800000E
	ds_write_b32 v13, v39 offset:3232                          // 000000008678: D81A0CA0 0000270D
	v_mfma_f32_16x16x16_f16 v[72:75], a[110:111], a[22:23], v[72:75]// 000000008680: D3CD0048 1D222D6E
	s_cmp_eq_i32 s80, 0                                        // 000000008688: BF008050
	s_cbranch_scc1 label_1338                                  // 00000000868C: BF8500F0
	s_cmp_lt_i32 s74, 6                                        // 000000008690: BF04864A
	s_cbranch_scc0 label_12BF                                  // 000000008694: BF84007E
	s_lshl_b32 s60, s74, 5                                     // 000000008698: 8E3C854A
	s_lshl_b32 s61, 0, 4                                       // 00000000869C: 8E3D8480
	s_add_i32 s60, s60, s61                                    // 0000000086A0: 813C3D3C
	v_sub_i32 v32, v232, s60                                   // 0000000086A4: D29D0020 000079E8
	s_mov_b32 s61, 0                                           // 0000000086AC: BEBD0080
	v_add_i32 v33, v32, s61                                    // 0000000086B0: D29C0021 00007B20
	v_cmp_gt_i32_e64 s[70:71], v33, 0                          // 0000000086B8: D0C40046 00010121
	v_cmp_gt_i32_e64 s[82:83], v33, 1                          // 0000000086C0: D0C40052 00010321
	v_cndmask_b32_e64 v52, v52, v178, s[70:71]                 // 0000000086C8: D1000034 011B6534
	v_cndmask_b32_e64 v53, v53, v178, s[82:83]                 // 0000000086D0: D1000035 014B6535
	v_cmp_gt_i32_e64 s[70:71], v33, 2                          // 0000000086D8: D0C40046 00010521
	v_cmp_gt_i32_e64 s[82:83], v33, 3                          // 0000000086E0: D0C40052 00010721
	v_cndmask_b32_e64 v54, v54, v178, s[70:71]                 // 0000000086E8: D1000036 011B6536
	v_cndmask_b32_e64 v55, v55, v178, s[82:83]                 // 0000000086F0: D1000037 014B6537
	s_mov_b32 s61, 64                                          // 0000000086F8: BEBD00C0
	v_add_i32 v33, v32, s61                                    // 0000000086FC: D29C0021 00007B20
	v_cmp_gt_i32_e64 s[70:71], v33, 0                          // 000000008704: D0C40046 00010121
	v_cmp_gt_i32_e64 s[82:83], v33, 1                          // 00000000870C: D0C40052 00010321
	v_cndmask_b32_e64 v56, v56, v178, s[70:71]                 // 000000008714: D1000038 011B6538
	v_cndmask_b32_e64 v57, v57, v178, s[82:83]                 // 00000000871C: D1000039 014B6539
	v_cmp_gt_i32_e64 s[70:71], v33, 2                          // 000000008724: D0C40046 00010521
	v_cmp_gt_i32_e64 s[82:83], v33, 3                          // 00000000872C: D0C40052 00010721
	v_cndmask_b32_e64 v58, v58, v178, s[70:71]                 // 000000008734: D100003A 011B653A
	v_cndmask_b32_e64 v59, v59, v178, s[82:83]                 // 00000000873C: D100003B 014B653B
	s_mov_b32 s61, 0x80                                        // 000000008744: BEBD00FF 00000080
	v_add_i32 v33, v32, s61                                    // 00000000874C: D29C0021 00007B20
	v_cmp_gt_i32_e64 s[70:71], v33, 0                          // 000000008754: D0C40046 00010121
	v_cmp_gt_i32_e64 s[82:83], v33, 1                          // 00000000875C: D0C40052 00010321
	v_cndmask_b32_e64 v60, v60, v178, s[70:71]                 // 000000008764: D100003C 011B653C
	v_cndmask_b32_e64 v61, v61, v178, s[82:83]                 // 00000000876C: D100003D 014B653D
	v_cmp_gt_i32_e64 s[70:71], v33, 2                          // 000000008774: D0C40046 00010521
	v_cmp_gt_i32_e64 s[82:83], v33, 3                          // 00000000877C: D0C40052 00010721
	v_cndmask_b32_e64 v62, v62, v178, s[70:71]                 // 000000008784: D100003E 011B653E
	v_cndmask_b32_e64 v63, v63, v178, s[82:83]                 // 00000000878C: D100003F 014B653F
	s_lshl_b32 s60, s74, 5                                     // 000000008794: 8E3C854A
	s_lshl_b32 s61, 1, 4                                       // 000000008798: 8E3D8481
	s_add_i32 s60, s60, s61                                    // 00000000879C: 813C3D3C
	v_sub_i32 v32, v232, s60                                   // 0000000087A0: D29D0020 000079E8
	s_mov_b32 s61, 0                                           // 0000000087A8: BEBD0080
	v_add_i32 v33, v32, s61                                    // 0000000087AC: D29C0021 00007B20
	v_cmp_gt_i32_e64 s[70:71], v33, 0                          // 0000000087B4: D0C40046 00010121
	v_cmp_gt_i32_e64 s[82:83], v33, 1                          // 0000000087BC: D0C40052 00010321
	v_cndmask_b32_e64 v64, v64, v178, s[70:71]                 // 0000000087C4: D1000040 011B6540
	v_cndmask_b32_e64 v65, v65, v178, s[82:83]                 // 0000000087CC: D1000041 014B6541
	v_cmp_gt_i32_e64 s[70:71], v33, 2                          // 0000000087D4: D0C40046 00010521
	v_cmp_gt_i32_e64 s[82:83], v33, 3                          // 0000000087DC: D0C40052 00010721
	v_cndmask_b32_e64 v66, v66, v178, s[70:71]                 // 0000000087E4: D1000042 011B6542
	v_cndmask_b32_e64 v67, v67, v178, s[82:83]                 // 0000000087EC: D1000043 014B6543
	s_mov_b32 s61, 64                                          // 0000000087F4: BEBD00C0
	v_add_i32 v33, v32, s61                                    // 0000000087F8: D29C0021 00007B20
	v_cmp_gt_i32_e64 s[70:71], v33, 0                          // 000000008800: D0C40046 00010121
	v_cmp_gt_i32_e64 s[82:83], v33, 1                          // 000000008808: D0C40052 00010321
	v_cndmask_b32_e64 v68, v68, v178, s[70:71]                 // 000000008810: D1000044 011B6544
	v_cndmask_b32_e64 v69, v69, v178, s[82:83]                 // 000000008818: D1000045 014B6545
	v_cmp_gt_i32_e64 s[70:71], v33, 2                          // 000000008820: D0C40046 00010521
	v_cmp_gt_i32_e64 s[82:83], v33, 3                          // 000000008828: D0C40052 00010721
	v_cndmask_b32_e64 v70, v70, v178, s[70:71]                 // 000000008830: D1000046 011B6546
	v_cndmask_b32_e64 v71, v71, v178, s[82:83]                 // 000000008838: D1000047 014B6547
	s_mov_b32 s61, 0x80                                        // 000000008840: BEBD00FF 00000080
	v_add_i32 v33, v32, s61                                    // 000000008848: D29C0021 00007B20
	v_cmp_gt_i32_e64 s[70:71], v33, 0                          // 000000008850: D0C40046 00010121
	v_cmp_gt_i32_e64 s[82:83], v33, 1                          // 000000008858: D0C40052 00010321
	v_cndmask_b32_e64 v72, v72, v178, s[70:71]                 // 000000008860: D1000048 011B6548
	v_cndmask_b32_e64 v73, v73, v178, s[82:83]                 // 000000008868: D1000049 014B6549
	v_cmp_gt_i32_e64 s[70:71], v33, 2                          // 000000008870: D0C40046 00010521
	v_cmp_gt_i32_e64 s[82:83], v33, 3                          // 000000008878: D0C40052 00010721
	v_cndmask_b32_e64 v74, v74, v178, s[70:71]                 // 000000008880: D100004A 011B654A
	v_cndmask_b32_e64 v75, v75, v178, s[82:83]                 // 000000008888: D100004B 014B654B

0000000000008890 <label_12BF>:
	s_cmp_lt_i32 s84, 0xc0                                     // 000000008890: BF04FF54 000000C0
	s_cbranch_scc0 label_1338                                  // 000000008898: BF84006D
	s_cmp_le_i32 s84, 64                                       // 00000000889C: BF05C054
	s_cbranch_scc1 label_12CB                                  // 0000000088A0: BF850007
	s_cmp_le_i32 s84, 0x80                                     // 0000000088A4: BF05FF54 00000080
	s_cbranch_scc1 label_12EF                                  // 0000000088AC: BF85001F
	s_cmp_lt_i32 s84, 0xc0                                     // 0000000088B0: BF04FF54 000000C0
	s_cbranch_scc1 label_1313                                  // 0000000088B8: BF850040
	s_branch label_1338                                        // 0000000088BC: BF820064

00000000000088c0 <label_12CB>:
	s_mov_b32 s60, 0                                           // 0000000088C0: BEBC0080
	v_and_b32_e32 v32, 15, v0                                  // 0000000088C4: 2640008F
	v_add_u32_e64 v32, v32, s60                                // 0000000088C8: D1340020 00007920
	v_mul_i32_i24_e64 v33, s46, 16                             // 0000000088D0: D1060021 0001202E
	v_add_u32_e32 v32, v32, v33                                // 0000000088D8: 68404320
	v_cmp_lt_u32_e64 s[60:61], v32, s84                        // 0000000088DC: D0C9003C 0000A920
	s_nop 1                                                    // 0000000088E4: BF800001
	v_cndmask_b32_e64 v52, v178, v52, s[60:61]                 // 0000000088E8: D1000034 00F269B2
	v_cndmask_b32_e64 v64, v178, v64, s[60:61]                 // 0000000088F0: D1000040 00F281B2
	v_cndmask_b32_e64 v53, v178, v53, s[60:61]                 // 0000000088F8: D1000035 00F26BB2
	v_cndmask_b32_e64 v65, v178, v65, s[60:61]                 // 000000008900: D1000041 00F283B2
	v_cndmask_b32_e64 v54, v178, v54, s[60:61]                 // 000000008908: D1000036 00F26DB2
	v_cndmask_b32_e64 v66, v178, v66, s[60:61]                 // 000000008910: D1000042 00F285B2
	v_cndmask_b32_e64 v55, v178, v55, s[60:61]                 // 000000008918: D1000037 00F26FB2
	v_cndmask_b32_e64 v67, v178, v67, s[60:61]                 // 000000008920: D1000043 00F287B2
	s_branch label_130A                                        // 000000008928: BF82001B

000000000000892c <label_12EF>:
	s_mov_b32 s60, 64                                          // 00000000892C: BEBC00C0
	v_and_b32_e32 v32, 15, v0                                  // 000000008930: 2640008F
	v_add_u32_e64 v32, v32, s60                                // 000000008934: D1340020 00007920
	v_mul_i32_i24_e64 v33, s46, 16                             // 00000000893C: D1060021 0001202E
	v_add_u32_e32 v32, v32, v33                                // 000000008944: 68404320
	v_cmp_lt_u32_e64 s[60:61], v32, s84                        // 000000008948: D0C9003C 0000A920
	s_nop 1                                                    // 000000008950: BF800001
	v_cndmask_b32_e64 v56, v178, v56, s[60:61]                 // 000000008954: D1000038 00F271B2
	v_cndmask_b32_e64 v68, v178, v68, s[60:61]                 // 00000000895C: D1000044 00F289B2
	v_cndmask_b32_e64 v57, v178, v57, s[60:61]                 // 000000008964: D1000039 00F273B2
	v_cndmask_b32_e64 v69, v178, v69, s[60:61]                 // 00000000896C: D1000045 00F28BB2
	v_cndmask_b32_e64 v58, v178, v58, s[60:61]                 // 000000008974: D100003A 00F275B2
	v_cndmask_b32_e64 v70, v178, v70, s[60:61]                 // 00000000897C: D1000046 00F28DB2
	v_cndmask_b32_e64 v59, v178, v59, s[60:61]                 // 000000008984: D100003B 00F277B2
	v_cndmask_b32_e64 v71, v178, v71, s[60:61]                 // 00000000898C: D1000047 00F28FB2
	s_branch label_132F                                        // 000000008994: BF820025

0000000000008998 <label_130A>:
	v_mov_b32_e32 v56, v178                                    // 000000008998: 7E7003B2
	v_mov_b32_e32 v68, v178                                    // 00000000899C: 7E8803B2
	v_mov_b32_e32 v57, v178                                    // 0000000089A0: 7E7203B2
	v_mov_b32_e32 v69, v178                                    // 0000000089A4: 7E8A03B2
	v_mov_b32_e32 v58, v178                                    // 0000000089A8: 7E7403B2
	v_mov_b32_e32 v70, v178                                    // 0000000089AC: 7E8C03B2
	v_mov_b32_e32 v59, v178                                    // 0000000089B0: 7E7603B2
	v_mov_b32_e32 v71, v178                                    // 0000000089B4: 7E8E03B2
	s_branch label_132F                                        // 0000000089B8: BF82001C

00000000000089bc <label_1313>:
	s_mov_b32 s60, 0x80                                        // 0000000089BC: BEBC00FF 00000080
	v_and_b32_e32 v32, 15, v0                                  // 0000000089C4: 2640008F
	v_add_u32_e64 v32, v32, s60                                // 0000000089C8: D1340020 00007920
	v_mul_i32_i24_e64 v33, s46, 16                             // 0000000089D0: D1060021 0001202E
	v_add_u32_e32 v32, v32, v33                                // 0000000089D8: 68404320
	v_cmp_lt_u32_e64 s[60:61], v32, s84                        // 0000000089DC: D0C9003C 0000A920
	s_nop 1                                                    // 0000000089E4: BF800001
	v_cndmask_b32_e64 v60, v178, v60, s[60:61]                 // 0000000089E8: D100003C 00F279B2
	v_cndmask_b32_e64 v72, v178, v72, s[60:61]                 // 0000000089F0: D1000048 00F291B2
	v_cndmask_b32_e64 v61, v178, v61, s[60:61]                 // 0000000089F8: D100003D 00F27BB2
	v_cndmask_b32_e64 v73, v178, v73, s[60:61]                 // 000000008A00: D1000049 00F293B2
	v_cndmask_b32_e64 v62, v178, v62, s[60:61]                 // 000000008A08: D100003E 00F27DB2
	v_cndmask_b32_e64 v74, v178, v74, s[60:61]                 // 000000008A10: D100004A 00F295B2
	v_cndmask_b32_e64 v63, v178, v63, s[60:61]                 // 000000008A18: D100003F 00F27FB2
	v_cndmask_b32_e64 v75, v178, v75, s[60:61]                 // 000000008A20: D100004B 00F297B2
	s_branch label_1338                                        // 000000008A28: BF820009

0000000000008a2c <label_132F>:
	v_mov_b32_e32 v60, v178                                    // 000000008A2C: 7E7803B2
	v_mov_b32_e32 v72, v178                                    // 000000008A30: 7E9003B2
	v_mov_b32_e32 v61, v178                                    // 000000008A34: 7E7A03B2
	v_mov_b32_e32 v73, v178                                    // 000000008A38: 7E9203B2
	v_mov_b32_e32 v62, v178                                    // 000000008A3C: 7E7C03B2
	v_mov_b32_e32 v74, v178                                    // 000000008A40: 7E9403B2
	v_mov_b32_e32 v63, v178                                    // 000000008A44: 7E7E03B2
	v_mov_b32_e32 v75, v178                                    // 000000008A48: 7E9603B2
	s_branch label_1338                                        // 000000008A4C: BF820000

0000000000008a50 <label_1338>:
	s_addk_i32 s74, 0x1                                        // 000000008A50: B74A0001
	s_waitcnt lgkmcnt(8)                                       // 000000008A54: BF8CC87F
	s_barrier                                                  // 000000008A58: BF8A0000
	v_mfma_f32_16x16x16_f16 v[76:79], v[108:109], a[72:73], 0  // 000000008A5C: D3CD004C 1202916C
	v_fma_f32 v52, v52, s57, -v140                             // 000000008A64: D1CB0034 86307334
	v_fma_f32 v53, v53, s57, -v141                             // 000000008A6C: D1CB0035 86347335
	v_fma_f32 v54, v54, s57, -v142                             // 000000008A74: D1CB0036 86387336
	v_fma_f32 v55, v55, s57, -v143                             // 000000008A7C: D1CB0037 863C7337
	v_fma_f32 v56, v56, s57, -v140                             // 000000008A84: D1CB0038 86307338
	v_fma_f32 v57, v57, s57, -v141                             // 000000008A8C: D1CB0039 86347339
	v_mfma_f32_16x16x16_f16 v[76:79], v[110:111], a[74:75], v[76:79]// 000000008A94: D3CD004C 1532956E
	ds_read_b128 a[96:99], v14 offset:4352                     // 000000008A9C: DBFE1100 6000000E
	ds_read_b128 a[100:103], v14 offset:4864                   // 000000008AA4: DBFE1300 6400000E
	v_mfma_f32_16x16x16_f16 v[76:79], v[112:113], a[76:77], v[76:79]// 000000008AAC: D3CD004C 15329970
	v_fma_f32 v58, v58, s57, -v142                             // 000000008AB4: D1CB003A 8638733A
	v_fma_f32 v59, v59, s57, -v143                             // 000000008ABC: D1CB003B 863C733B
	v_fma_f32 v60, v60, s57, -v140                             // 000000008AC4: D1CB003C 8630733C
	v_fma_f32 v61, v61, s57, -v141                             // 000000008ACC: D1CB003D 8634733D
	v_fma_f32 v62, v62, s57, -v142                             // 000000008AD4: D1CB003E 8638733E
	v_fma_f32 v63, v63, s57, -v143                             // 000000008ADC: D1CB003F 863C733F
	v_mfma_f32_16x16x16_f16 v[76:79], v[114:115], a[78:79], v[76:79]// 000000008AE4: D3CD004C 15329D72
	v_fma_f32 v64, v64, s57, -v144                             // 000000008AEC: D1CB0040 86407340
	v_fma_f32 v65, v65, s57, -v145                             // 000000008AF4: D1CB0041 86447341
	v_fma_f32 v66, v66, s57, -v146                             // 000000008AFC: D1CB0042 86487342
	v_fma_f32 v67, v67, s57, -v147                             // 000000008B04: D1CB0043 864C7343
	v_fma_f32 v68, v68, s57, -v144                             // 000000008B0C: D1CB0044 86407344
	v_fma_f32 v69, v69, s57, -v145                             // 000000008B14: D1CB0045 86447345
	v_mfma_f32_16x16x16_f16 v[80:83], v[108:109], a[80:81], 0  // 000000008B1C: D3CD0050 1202A16C
	v_fma_f32 v70, v70, s57, -v146                             // 000000008B24: D1CB0046 86487346
	v_fma_f32 v71, v71, s57, -v147                             // 000000008B2C: D1CB0047 864C7347
	v_fma_f32 v72, v72, s57, -v144                             // 000000008B34: D1CB0048 86407348
	v_fma_f32 v73, v73, s57, -v145                             // 000000008B3C: D1CB0049 86447349
	v_fma_f32 v74, v74, s57, -v146                             // 000000008B44: D1CB004A 8648734A
	v_fma_f32 v75, v75, s57, -v147                             // 000000008B4C: D1CB004B 864C734B
	v_mfma_f32_16x16x16_f16 v[80:83], v[110:111], a[82:83], v[80:83]// 000000008B54: D3CD0050 1542A56E
	ds_read_b128 a[104:107], v14 offset:6528                   // 000000008B5C: DBFE1980 6800000E
	ds_read_b128 a[108:111], v14 offset:7040                   // 000000008B64: DBFE1B80 6C00000E
	v_mfma_f32_16x16x16_f16 v[80:83], v[112:113], a[84:85], v[80:83]// 000000008B6C: D3CD0050 1542A970
	v_exp_f32_e32 v52, v52                                     // 000000008B74: 7E684134
	v_exp_f32_e32 v53, v53                                     // 000000008B78: 7E6A4135
	v_mfma_f32_16x16x16_f16 v[80:83], v[114:115], a[86:87], v[80:83]// 000000008B7C: D3CD0050 1542AD72
	v_exp_f32_e32 v54, v54                                     // 000000008B84: 7E6C4136
	v_exp_f32_e32 v55, v55                                     // 000000008B88: 7E6E4137
	v_mfma_f32_16x16x16_f16 v[84:87], v[108:109], a[88:89], 0  // 000000008B8C: D3CD0054 1202B16C
	v_exp_f32_e32 v56, v56                                     // 000000008B94: 7E704138
	v_exp_f32_e32 v57, v57                                     // 000000008B98: 7E724139
	v_mfma_f32_16x16x16_f16 v[84:87], v[110:111], a[90:91], v[84:87]// 000000008B9C: D3CD0054 1552B56E
	ds_read_b64 v[156:157], v21 offset:31232                   // 000000008BA4: D8EC7A00 9C000015
	ds_read_b64 v[158:159], v21 offset:33280                   // 000000008BAC: D8EC8200 9E000015
	v_mfma_f32_16x16x16_f16 v[84:87], v[112:113], a[92:93], v[84:87]// 000000008BB4: D3CD0054 1552B970
	v_exp_f32_e32 v58, v58                                     // 000000008BBC: 7E74413A
	v_exp_f32_e32 v59, v59                                     // 000000008BC0: 7E76413B
	v_mfma_f32_16x16x16_f16 v[84:87], v[114:115], a[94:95], v[84:87]// 000000008BC4: D3CD0054 1552BD72
	ds_read_b64 v[160:161], v21 offset:35328                   // 000000008BCC: D8EC8A00 A0000015
	ds_read_b64 v[162:163], v21 offset:37376                   // 000000008BD4: D8EC9200 A2000015
	v_mfma_f32_16x16x16_f16 v[88:91], v[116:117], a[72:73], 0  // 000000008BDC: D3CD0058 12029174
	v_exp_f32_e32 v60, v60                                     // 000000008BE4: 7E78413C
	v_exp_f32_e32 v61, v61                                     // 000000008BE8: 7E7A413D
	v_mfma_f32_16x16x16_f16 v[88:91], v[118:119], a[74:75], v[88:91]// 000000008BEC: D3CD0058 15629576
	v_exp_f32_e32 v62, v62                                     // 000000008BF4: 7E7C413E
	v_exp_f32_e32 v63, v63                                     // 000000008BF8: 7E7E413F
	v_mfma_f32_16x16x16_f16 v[88:91], v[120:121], a[76:77], v[88:91]// 000000008BFC: D3CD0058 15629978
	v_exp_f32_e32 v64, v64                                     // 000000008C04: 7E804140
	v_exp_f32_e32 v65, v65                                     // 000000008C08: 7E824141
	v_mfma_f32_16x16x16_f16 v[88:91], v[122:123], a[78:79], v[88:91]// 000000008C0C: D3CD0058 15629D7A
	v_exp_f32_e32 v66, v66                                     // 000000008C14: 7E844142
	v_exp_f32_e32 v67, v67                                     // 000000008C18: 7E864143
	v_mfma_f32_16x16x16_f16 v[92:95], v[116:117], a[80:81], 0  // 000000008C1C: D3CD005C 1202A174
	v_exp_f32_e32 v68, v68                                     // 000000008C24: 7E884144
	v_exp_f32_e32 v69, v69                                     // 000000008C28: 7E8A4145
	v_mfma_f32_16x16x16_f16 v[92:95], v[118:119], a[82:83], v[92:95]// 000000008C2C: D3CD005C 1572A576
	v_exp_f32_e32 v70, v70                                     // 000000008C34: 7E8C4146
	v_exp_f32_e32 v71, v71                                     // 000000008C38: 7E8E4147
	v_mfma_f32_16x16x16_f16 v[92:95], v[120:121], a[84:85], v[92:95]// 000000008C3C: D3CD005C 1572A978
	v_exp_f32_e32 v72, v72                                     // 000000008C44: 7E904148
	v_exp_f32_e32 v73, v73                                     // 000000008C48: 7E924149
	v_mfma_f32_16x16x16_f16 v[92:95], v[122:123], a[86:87], v[92:95]// 000000008C4C: D3CD005C 1572AD7A
	v_exp_f32_e32 v74, v74                                     // 000000008C54: 7E94414A
	v_exp_f32_e32 v75, v75                                     // 000000008C58: 7E96414B
	v_mfma_f32_16x16x16_f16 v[96:99], v[116:117], a[88:89], 0  // 000000008C5C: D3CD0060 1202B174
	v_cvt_pkrtz_f16_f32 v164, v52, v53                         // 000000008C64: D29600A4 00026B34
	v_cvt_pkrtz_f16_f32 v165, v54, v55                         // 000000008C6C: D29600A5 00026F36
	v_cvt_pkrtz_f16_f32 v166, v56, v57                         // 000000008C74: D29600A6 00027338
	v_cvt_pkrtz_f16_f32 v167, v58, v59                         // 000000008C7C: D29600A7 0002773A
	v_cvt_pkrtz_f16_f32 v168, v60, v61                         // 000000008C84: D29600A8 00027B3C
	v_cvt_pkrtz_f16_f32 v169, v62, v63                         // 000000008C8C: D29600A9 00027F3E
	v_mfma_f32_16x16x16_f16 v[96:99], v[118:119], a[90:91], v[96:99]// 000000008C94: D3CD0060 1582B576
	v_cvt_pkrtz_f16_f32 v170, v64, v65                         // 000000008C9C: D29600AA 00028340
	v_cvt_pkrtz_f16_f32 v171, v66, v67                         // 000000008CA4: D29600AB 00028742
	v_cvt_pkrtz_f16_f32 v172, v68, v69                         // 000000008CAC: D29600AC 00028B44
	v_cvt_pkrtz_f16_f32 v173, v70, v71                         // 000000008CB4: D29600AD 00028F46
	v_cvt_pkrtz_f16_f32 v174, v72, v73                         // 000000008CBC: D29600AE 00029348
	v_cvt_pkrtz_f16_f32 v175, v74, v75                         // 000000008CC4: D29600AF 0002974A
	v_mfma_f32_16x16x16_f16 v[96:99], v[120:121], a[92:93], v[96:99]// 000000008CCC: D3CD0060 1582B978
	v_add_u32_e32 v6, s66, v6                                  // 000000008CD4: 680C0C42
	v_add_u32_e32 v7, s66, v7                                  // 000000008CD8: 680E0E42
	v_add_u32_e32 v8, s66, v8                                  // 000000008CDC: 68101042
	v_add_u32_e32 v9, s66, v9                                  // 000000008CE0: 68121242
	v_mfma_f32_16x16x16_f16 v[96:99], v[122:123], a[94:95], v[96:99]// 000000008CE4: D3CD0060 1582BD7A
	s_waitcnt lgkmcnt(0)                                       // 000000008CEC: BF8CC07F
	s_barrier                                                  // 000000008CF0: BF8A0000
	v_mfma_f32_16x16x16_f16 v[180:183], v[124:125], v[164:165], v[180:183]// 000000008CF4: D3CD00B4 06D3497C
	v_subrev_f32_dpp v76, v176, v76 quad_perm:[0,0,0,0] row_mask:0xf bank_mask:0xf// 000000008CFC: 069898FA FF0000B0
	v_subrev_f32_dpp v77, v176, v77 quad_perm:[1,1,1,1] row_mask:0xf bank_mask:0xf// 000000008D04: 069A9AFA FF0055B0
	v_subrev_f32_dpp v78, v176, v78 quad_perm:[2,2,2,2] row_mask:0xf bank_mask:0xf// 000000008D0C: 069C9CFA FF00AAB0
	v_subrev_f32_dpp v79, v176, v79 quad_perm:[3,3,3,3] row_mask:0xf bank_mask:0xf// 000000008D14: 069E9EFA FF00FFB0
	v_subrev_f32_dpp v80, v176, v80 quad_perm:[0,0,0,0] row_mask:0xf bank_mask:0xf// 000000008D1C: 06A0A0FA FF0000B0
	v_subrev_f32_dpp v81, v176, v81 quad_perm:[1,1,1,1] row_mask:0xf bank_mask:0xf// 000000008D24: 06A2A2FA FF0055B0
	v_mfma_f32_16x16x16_f16 v[184:187], v[126:127], v[164:165], v[184:187]// 000000008D2C: D3CD00B8 06E3497E
	v_subrev_f32_dpp v82, v176, v82 quad_perm:[2,2,2,2] row_mask:0xf bank_mask:0xf// 000000008D34: 06A4A4FA FF00AAB0
	v_subrev_f32_dpp v83, v176, v83 quad_perm:[3,3,3,3] row_mask:0xf bank_mask:0xf// 000000008D3C: 06A6A6FA FF00FFB0
	v_subrev_f32_dpp v84, v176, v84 quad_perm:[0,0,0,0] row_mask:0xf bank_mask:0xf// 000000008D44: 06A8A8FA FF0000B0
	v_subrev_f32_dpp v85, v176, v85 quad_perm:[1,1,1,1] row_mask:0xf bank_mask:0xf// 000000008D4C: 06AAAAFA FF0055B0
	v_subrev_f32_dpp v86, v176, v86 quad_perm:[2,2,2,2] row_mask:0xf bank_mask:0xf// 000000008D54: 06ACACFA FF00AAB0
	v_subrev_f32_dpp v87, v176, v87 quad_perm:[3,3,3,3] row_mask:0xf bank_mask:0xf// 000000008D5C: 06AEAEFA FF00FFB0
	v_mfma_f32_16x16x16_f16 v[188:191], v[128:129], v[164:165], v[188:191]// 000000008D64: D3CD00BC 06F34980
	v_mul_f32_e32 v76, v52, v76                                // 000000008D6C: 0A989934
	v_mul_f32_e32 v77, v53, v77                                // 000000008D70: 0A9A9B35
	v_mul_f32_e32 v78, v54, v78                                // 000000008D74: 0A9C9D36
	v_mul_f32_e32 v79, v55, v79                                // 000000008D78: 0A9E9F37
	v_mul_f32_e32 v80, v56, v80                                // 000000008D7C: 0AA0A138
	v_mul_f32_e32 v81, v57, v81                                // 000000008D80: 0AA2A339
	v_mfma_f32_16x16x16_f16 v[192:195], v[130:131], v[164:165], v[192:195]// 000000008D84: D3CD00C0 07034982
	v_mul_f32_e32 v82, v58, v82                                // 000000008D8C: 0AA4A53A
	v_mul_f32_e32 v83, v59, v83                                // 000000008D90: 0AA6A73B
	v_mul_f32_e32 v84, v60, v84                                // 000000008D94: 0AA8A93C
	v_mul_f32_e32 v85, v61, v85                                // 000000008D98: 0AAAAB3D
	v_mul_f32_e32 v86, v62, v86                                // 000000008D9C: 0AACAD3E
	v_mul_f32_e32 v87, v63, v87                                // 000000008DA0: 0AAEAF3F
	v_mfma_f32_16x16x16_f16 v[196:199], v[124:125], v[166:167], v[196:199]// 000000008DA4: D3CD00C4 07134D7C
	v_cvt_pkrtz_f16_f32 v76, v76, v77                          // 000000008DAC: D296004C 00029B4C
	v_cvt_pkrtz_f16_f32 v77, v78, v79                          // 000000008DB4: D296004D 00029F4E
	v_cvt_pkrtz_f16_f32 v78, v80, v81                          // 000000008DBC: D296004E 0002A350
	v_cvt_pkrtz_f16_f32 v79, v82, v83                          // 000000008DC4: D296004F 0002A752
	v_cvt_pkrtz_f16_f32 v80, v84, v85                          // 000000008DCC: D2960050 0002AB54
	v_cvt_pkrtz_f16_f32 v81, v86, v87                          // 000000008DD4: D2960051 0002AF56
	v_mfma_f32_16x16x16_f16 v[200:203], v[126:127], v[166:167], v[200:203]// 000000008DDC: D3CD00C8 07234D7E
	v_mov_b32_dpp v18, v76 quad_perm:[1,0,3,2] row_mask:0xf bank_mask:0xf// 000000008DE4: 7E2402FA FF00B14C
	v_perm_b32 v52, v18, v76, v17                              // 000000008DEC: D1ED0034 04469912
	v_mov_b32_dpp v18, v77 quad_perm:[1,0,3,2] row_mask:0xf bank_mask:0xf// 000000008DF4: 7E2402FA FF00B14D
	v_perm_b32 v53, v18, v77, v17                              // 000000008DFC: D1ED0035 04469B12
	v_mov_b32_dpp v18, v78 quad_perm:[1,0,3,2] row_mask:0xf bank_mask:0xf// 000000008E04: 7E2402FA FF00B14E
	v_perm_b32 v54, v18, v78, v17                              // 000000008E0C: D1ED0036 04469D12
	v_mfma_f32_16x16x16_f16 v[204:207], v[128:129], v[166:167], v[204:207]// 000000008E14: D3CD00CC 07334D80
	ds_write_b32 v20, v52 offset:17408                         // 000000008E1C: D81A4400 00003414
	ds_write_b32 v20, v53 offset:17952                         // 000000008E24: D81A4620 00003514
	v_mfma_f32_16x16x16_f16 v[208:211], v[130:131], v[166:167], v[208:211]// 000000008E2C: D3CD00D0 07434D82
	v_mov_b32_dpp v18, v79 quad_perm:[1,0,3,2] row_mask:0xf bank_mask:0xf// 000000008E34: 7E2402FA FF00B14F
	v_perm_b32 v55, v18, v79, v17                              // 000000008E3C: D1ED0037 04469F12
	v_mov_b32_dpp v18, v80 quad_perm:[1,0,3,2] row_mask:0xf bank_mask:0xf// 000000008E44: 7E2402FA FF00B150
	v_perm_b32 v56, v18, v80, v17                              // 000000008E4C: D1ED0038 0446A112
	v_mov_b32_dpp v18, v81 quad_perm:[1,0,3,2] row_mask:0xf bank_mask:0xf// 000000008E54: 7E2402FA FF00B151
	v_perm_b32 v57, v18, v81, v17                              // 000000008E5C: D1ED0039 0446A312
	v_mfma_f32_16x16x16_f16 v[212:215], v[124:125], v[168:169], v[212:215]// 000000008E64: D3CD00D4 0753517C
	ds_write_b32 v20, v54 offset:19712                         // 000000008E6C: D81A4D00 00003614
	ds_write_b32 v20, v55 offset:20256                         // 000000008E74: D81A4F20 00003714
	v_mfma_f32_16x16x16_f16 v[216:219], v[126:127], v[168:169], v[216:219]// 000000008E7C: D3CD00D8 0763517E
	v_subrev_f32_dpp v88, v177, v88 quad_perm:[0,0,0,0] row_mask:0xf bank_mask:0xf// 000000008E84: 06B0B0FA FF0000B1
	v_subrev_f32_dpp v89, v177, v89 quad_perm:[1,1,1,1] row_mask:0xf bank_mask:0xf// 000000008E8C: 06B2B2FA FF0055B1
	v_subrev_f32_dpp v90, v177, v90 quad_perm:[2,2,2,2] row_mask:0xf bank_mask:0xf// 000000008E94: 06B4B4FA FF00AAB1
	v_subrev_f32_dpp v91, v177, v91 quad_perm:[3,3,3,3] row_mask:0xf bank_mask:0xf// 000000008E9C: 06B6B6FA FF00FFB1
	v_subrev_f32_dpp v92, v177, v92 quad_perm:[0,0,0,0] row_mask:0xf bank_mask:0xf// 000000008EA4: 06B8B8FA FF0000B1
	v_subrev_f32_dpp v93, v177, v93 quad_perm:[1,1,1,1] row_mask:0xf bank_mask:0xf// 000000008EAC: 06BABAFA FF0055B1
	v_mfma_f32_16x16x16_f16 v[220:223], v[128:129], v[168:169], v[220:223]// 000000008EB4: D3CD00DC 07735180
	ds_write_b32 v20, v56 offset:22016                         // 000000008EBC: D81A5600 00003814
	ds_write_b32 v20, v57 offset:22560                         // 000000008EC4: D81A5820 00003914
	v_mfma_f32_16x16x16_f16 v[224:227], v[130:131], v[168:169], v[224:227]// 000000008ECC: D3CD00E0 07835182
	v_subrev_f32_dpp v94, v177, v94 quad_perm:[2,2,2,2] row_mask:0xf bank_mask:0xf// 000000008ED4: 06BCBCFA FF00AAB1
	v_subrev_f32_dpp v95, v177, v95 quad_perm:[3,3,3,3] row_mask:0xf bank_mask:0xf// 000000008EDC: 06BEBEFA FF00FFB1
	v_subrev_f32_dpp v96, v177, v96 quad_perm:[0,0,0,0] row_mask:0xf bank_mask:0xf// 000000008EE4: 06C0C0FA FF0000B1
	v_subrev_f32_dpp v97, v177, v97 quad_perm:[1,1,1,1] row_mask:0xf bank_mask:0xf// 000000008EEC: 06C2C2FA FF0055B1
	v_subrev_f32_dpp v98, v177, v98 quad_perm:[2,2,2,2] row_mask:0xf bank_mask:0xf// 000000008EF4: 06C4C4FA FF00AAB1
	v_subrev_f32_dpp v99, v177, v99 quad_perm:[3,3,3,3] row_mask:0xf bank_mask:0xf// 000000008EFC: 06C6C6FA FF00FFB1
	v_mfma_f32_16x16x16_f16 v[180:183], v[132:133], v[170:171], v[180:183]// 000000008F04: D3CD00B4 06D35584
	v_mul_f32_e32 v88, v64, v88                                // 000000008F0C: 0AB0B140
	v_mul_f32_e32 v89, v65, v89                                // 000000008F10: 0AB2B341
	v_mul_f32_e32 v90, v66, v90                                // 000000008F14: 0AB4B542
	v_mul_f32_e32 v91, v67, v91                                // 000000008F18: 0AB6B743
	v_mul_f32_e32 v92, v68, v92                                // 000000008F1C: 0AB8B944
	v_mul_f32_e32 v93, v69, v93                                // 000000008F20: 0ABABB45
	v_mfma_f32_16x16x16_f16 v[184:187], v[134:135], v[170:171], v[184:187]// 000000008F24: D3CD00B8 06E35586
	v_mul_f32_e32 v94, v70, v94                                // 000000008F2C: 0ABCBD46
	v_mul_f32_e32 v95, v71, v95                                // 000000008F30: 0ABEBF47
	v_mul_f32_e32 v96, v72, v96                                // 000000008F34: 0AC0C148
	v_mul_f32_e32 v97, v73, v97                                // 000000008F38: 0AC2C349
	v_mul_f32_e32 v98, v74, v98                                // 000000008F3C: 0AC4C54A
	v_mul_f32_e32 v99, v75, v99                                // 000000008F40: 0AC6C74B
	v_mfma_f32_16x16x16_f16 v[188:191], v[136:137], v[170:171], v[188:191]// 000000008F44: D3CD00BC 06F35588
	v_cvt_pkrtz_f16_f32 v82, v88, v89                          // 000000008F4C: D2960052 0002B358
	v_cvt_pkrtz_f16_f32 v83, v90, v91                          // 000000008F54: D2960053 0002B75A
	v_cvt_pkrtz_f16_f32 v84, v92, v93                          // 000000008F5C: D2960054 0002BB5C
	v_cvt_pkrtz_f16_f32 v85, v94, v95                          // 000000008F64: D2960055 0002BF5E
	v_cvt_pkrtz_f16_f32 v86, v96, v97                          // 000000008F6C: D2960056 0002C360
	v_cvt_pkrtz_f16_f32 v87, v98, v99                          // 000000008F74: D2960057 0002C762
	v_mfma_f32_16x16x16_f16 v[192:195], v[138:139], v[170:171], v[192:195]// 000000008F7C: D3CD00C0 0703558A
	v_mov_b32_dpp v18, v82 quad_perm:[1,0,3,2] row_mask:0xf bank_mask:0xf// 000000008F84: 7E2402FA FF00B152
	v_perm_b32 v58, v18, v82, v17                              // 000000008F8C: D1ED003A 0446A512
	v_mov_b32_dpp v18, v83 quad_perm:[1,0,3,2] row_mask:0xf bank_mask:0xf// 000000008F94: 7E2402FA FF00B153
	v_perm_b32 v59, v18, v83, v17                              // 000000008F9C: D1ED003B 0446A712
	v_mov_b32_dpp v18, v84 quad_perm:[1,0,3,2] row_mask:0xf bank_mask:0xf// 000000008FA4: 7E2402FA FF00B154
	v_perm_b32 v60, v18, v84, v17                              // 000000008FAC: D1ED003C 0446A912
	v_mfma_f32_16x16x16_f16 v[196:199], v[132:133], v[172:173], v[196:199]// 000000008FB4: D3CD00C4 07135984
	ds_write_b32 v20, v58 offset:24320                         // 000000008FBC: D81A5F00 00003A14
	ds_write_b32 v20, v59 offset:24864                         // 000000008FC4: D81A6120 00003B14
	v_mfma_f32_16x16x16_f16 v[200:203], v[134:135], v[172:173], v[200:203]// 000000008FCC: D3CD00C8 07235986
	v_mov_b32_dpp v18, v85 quad_perm:[1,0,3,2] row_mask:0xf bank_mask:0xf// 000000008FD4: 7E2402FA FF00B155
	v_perm_b32 v61, v18, v85, v17                              // 000000008FDC: D1ED003D 0446AB12
	v_mov_b32_dpp v18, v86 quad_perm:[1,0,3,2] row_mask:0xf bank_mask:0xf// 000000008FE4: 7E2402FA FF00B156
	v_perm_b32 v62, v18, v86, v17                              // 000000008FEC: D1ED003E 0446AD12
	v_mov_b32_dpp v18, v87 quad_perm:[1,0,3,2] row_mask:0xf bank_mask:0xf// 000000008FF4: 7E2402FA FF00B157
	v_perm_b32 v63, v18, v87, v17                              // 000000008FFC: D1ED003F 0446AF12
	v_mfma_f32_16x16x16_f16 v[204:207], v[136:137], v[172:173], v[204:207]// 000000009004: D3CD00CC 07335988
	ds_write_b32 v20, v60 offset:26624                         // 00000000900C: D81A6800 00003C14
	ds_write_b32 v20, v61 offset:27168                         // 000000009014: D81A6A20 00003D14
	ds_write_b32 v20, v62 offset:28928                         // 00000000901C: D81A7100 00003E14
	ds_write_b32 v20, v63 offset:29472                         // 000000009024: D81A7320 00003F14
	v_mfma_f32_16x16x16_f16 v[208:211], v[138:139], v[172:173], v[208:211]// 00000000902C: D3CD00D0 0743598A
	v_mfma_f32_16x16x16_f16 v[212:215], v[132:133], v[174:175], v[212:215]// 000000009034: D3CD00D4 07535D84
	ds_write_b32 v15, v100 offset:4352                         // 00000000903C: D81A1100 0000640F
	ds_write_b32 v15, v101 offset:5408                         // 000000009044: D81A1520 0000650F
	v_mfma_f32_16x16x16_f16 v[216:219], v[134:135], v[174:175], v[216:219]// 00000000904C: D3CD00D8 07635D86
	v_mfma_f32_16x16x16_f16 v[220:223], v[136:137], v[174:175], v[220:223]// 000000009054: D3CD00DC 07735D88
	ds_write_b32 v15, v102 offset:6528                         // 00000000905C: D81A1980 0000660F
	ds_write_b32 v15, v103 offset:7584                         // 000000009064: D81A1DA0 0000670F
	v_mfma_f32_16x16x16_f16 v[224:227], v[138:139], v[174:175], v[224:227]// 00000000906C: D3CD00E0 07835D8A
	s_nop 0                                                    // 000000009074: BF800000
	s_nop 0                                                    // 000000009078: BF800000
	s_nop 0                                                    // 00000000907C: BF800000
	s_barrier                                                  // 000000009080: BF8A0000
	v_mfma_f32_16x16x16_f16 a[112:115], a[96:97], v[76:77], a[112:115]// 000000009084: D3CD8070 0DC29960
	ds_read_b32 v140, v23 offset:39424                         // 00000000908C: D86C9A00 8C000017
	ds_read_b32 v144, v23 offset:39488                         // 000000009094: D86C9A40 90000017
	ds_read_b32 v176, v23 offset:39680                         // 00000000909C: D86C9B00 B0000017
	ds_read_b32 v177, v23 offset:39744                         // 0000000090A4: D86C9B40 B1000017
	v_mfma_f32_16x16x16_f16 a[116:119], a[98:99], v[76:77], a[116:119]// 0000000090AC: D3CD8074 0DD29962
	buffer_atomic_add_f32 v156, v6, s[32:35], 0 idxen          // 0000000090B4: E1342000 80089C06
	v_mfma_f32_16x16x16_f16 a[120:123], a[100:101], v[76:77], a[120:123]// 0000000090BC: D3CD8078 0DE29964
	s_waitcnt lgkmcnt(8)                                       // 0000000090C4: BF8CC87F
	s_barrier                                                  // 0000000090C8: BF8A0000
	v_mfma_f32_16x16x16_f16 a[124:127], a[102:103], v[76:77], a[124:127]// 0000000090CC: D3CD807C 0DF29966
	v_mfma_f32_16x16x16_f16 a[128:131], a[96:97], v[78:79], a[128:131]// 0000000090D4: D3CD8080 0E029D60
	ds_read_b128 v[52:55], v19 offset:17408                    // 0000000090DC: D9FE4400 34000013
	v_mfma_f32_16x16x16_f16 a[132:135], a[98:99], v[78:79], a[132:135]// 0000000090E4: D3CD8084 0E129D62
	v_mfma_f32_16x16x16_f16 a[136:139], a[100:101], v[78:79], a[136:139]// 0000000090EC: D3CD8088 0E229D64
	ds_read_b128 v[56:59], v19 offset:18560                    // 0000000090F4: D9FE4880 38000013
	v_mfma_f32_16x16x16_f16 a[140:143], a[102:103], v[78:79], a[140:143]// 0000000090FC: D3CD808C 0E329D66
	buffer_atomic_add_f32 v157, v7, s[32:35], 0 idxen          // 000000009104: E1342000 80089D07
	v_mfma_f32_16x16x16_f16 a[144:147], a[96:97], v[80:81], a[144:147]// 00000000910C: D3CD8090 0E42A160
	ds_read_b128 v[60:63], v19 offset:19712                    // 000000009114: D9FE4D00 3C000013
	v_mfma_f32_16x16x16_f16 a[148:151], a[98:99], v[80:81], a[148:151]// 00000000911C: D3CD8094 0E52A162
	v_mfma_f32_16x16x16_f16 a[152:155], a[100:101], v[80:81], a[152:155]// 000000009124: D3CD8098 0E62A164
	ds_read_b128 v[64:67], v19 offset:20864                    // 00000000912C: D9FE5180 40000013
	v_mfma_f32_16x16x16_f16 a[156:159], a[102:103], v[80:81], a[156:159]// 000000009134: D3CD809C 0E72A166
	v_mfma_f32_16x16x16_f16 a[112:115], a[104:105], v[82:83], a[112:115]// 00000000913C: D3CD8070 0DC2A568
	ds_read_b128 v[68:71], v19 offset:22016                    // 000000009144: D9FE5600 44000013
	v_mfma_f32_16x16x16_f16 a[116:119], a[106:107], v[82:83], a[116:119]// 00000000914C: D3CD8074 0DD2A56A
	buffer_atomic_add_f32 v158, v6, s[32:35], 0 idxen offset:128// 000000009154: E1342080 80089E06
	v_mfma_f32_16x16x16_f16 a[120:123], a[108:109], v[82:83], a[120:123]// 00000000915C: D3CD8078 0DE2A56C
	ds_read_b128 v[72:75], v19 offset:23168                    // 000000009164: D9FE5A80 48000013
	v_mfma_f32_16x16x16_f16 a[124:127], a[110:111], v[82:83], a[124:127]// 00000000916C: D3CD807C 0DF2A56E
	v_mfma_f32_16x16x16_f16 a[128:131], a[104:105], v[84:85], a[128:131]// 000000009174: D3CD8080 0E02A968
	ds_write_b32 v15, v104 offset:13056                        // 00000000917C: D81A3300 0000680F
	v_mfma_f32_16x16x16_f16 a[132:135], a[106:107], v[84:85], a[132:135]// 000000009184: D3CD8084 0E12A96A
	v_mfma_f32_16x16x16_f16 a[136:139], a[108:109], v[84:85], a[136:139]// 00000000918C: D3CD8088 0E22A96C
	ds_write_b32 v15, v105 offset:14112                        // 000000009194: D81A3720 0000690F
	v_mfma_f32_16x16x16_f16 a[140:143], a[110:111], v[84:85], a[140:143]// 00000000919C: D3CD808C 0E32A96E
	buffer_atomic_add_f32 v159, v7, s[32:35], 0 idxen offset:128// 0000000091A4: E1342080 80089F07
	v_mfma_f32_16x16x16_f16 a[144:147], a[104:105], v[86:87], a[144:147]// 0000000091AC: D3CD8090 0E42AD68
	ds_write_b32 v15, v106 offset:15232                        // 0000000091B4: D81A3B80 00006A0F
	v_mfma_f32_16x16x16_f16 a[148:151], a[106:107], v[86:87], a[148:151]// 0000000091BC: D3CD8094 0E52AD6A
	v_mfma_f32_16x16x16_f16 a[152:155], a[108:109], v[86:87], a[152:155]// 0000000091C4: D3CD8098 0E62AD6C
	ds_write_b32 v15, v107 offset:16288                        // 0000000091CC: D81A3FA0 00006B0F
	v_mfma_f32_16x16x16_f16 a[156:159], a[110:111], v[86:87], a[156:159]// 0000000091D4: D3CD809C 0E72AD6E
	s_waitcnt vmcnt(8) lgkmcnt(4)                              // 0000000091DC: BF8C0478
	s_barrier                                                  // 0000000091E0: BF8A0000
	v_mfma_f32_16x16x16_f16 v[148:151], v[52:53], a[24:25], 0  // 0000000091E4: D3CD0094 12023134
	ds_read_b128 a[96:99], v12                                 // 0000000091EC: DBFE0000 6000000C
	buffer_load_dword v36, v1, s[8:11], 0 idxen                // 0000000091F4: E0502000 80022401
	v_mfma_f32_16x16x16_f16 v[148:151], v[54:55], a[28:29], v[148:151]// 0000000091FC: D3CD0094 16523936
	v_mul_f32_e32 v140, s48, v140                              // 000000009204: 0B191830
	v_mul_f32_e32 v144, s48, v144                              // 000000009208: 0B212030
	s_nop 0                                                    // 00000000920C: BF800000
	v_mfma_f32_16x16x16_f16 v[148:151], v[56:57], a[32:33], v[148:151]// 000000009210: D3CD0094 16524138
	ds_read_b128 a[100:103], v12 offset:512                    // 000000009218: DBFE0200 6400000C
	buffer_load_dword v37, v2, s[8:11], 0 idxen                // 000000009220: E0502000 80022502
	v_mfma_f32_16x16x16_f16 v[148:151], v[58:59], a[36:37], v[148:151]// 000000009228: D3CD0094 1652493A
	v_mfma_f32_16x16x16_f16 v[148:151], v[60:61], a[40:41], v[148:151]// 000000009230: D3CD0094 1652513C
	ds_read_b128 a[104:107], v12 offset:2176                   // 000000009238: DBFE0880 6800000C
	buffer_load_dword v38, v3, s[8:11], 0 idxen                // 000000009240: E0502000 80022603
	v_mfma_f32_16x16x16_f16 v[148:151], v[62:63], a[44:45], v[148:151]// 000000009248: D3CD0094 1652593E
	v_perm_b32 v100, v41, v40, s63                             // 000000009250: D1ED0064 00FE5129
	v_perm_b32 v101, v41, v40, s64                             // 000000009258: D1ED0065 01025129
	v_mfma_f32_16x16x16_f16 v[148:151], v[64:65], a[48:49], v[148:151]// 000000009260: D3CD0094 16526140
	ds_read_b128 a[108:111], v12 offset:2688                   // 000000009268: DBFE0A80 6C00000C
	buffer_load_dword v39, v4, s[8:11], 0 idxen                // 000000009270: E0502000 80022704
	v_mfma_f32_16x16x16_f16 v[148:151], v[66:67], a[52:53], v[148:151]// 000000009278: D3CD0094 16526942
	v_perm_b32 v102, v43, v42, s63                             // 000000009280: D1ED0066 00FE552B
	v_perm_b32 v103, v43, v42, s64                             // 000000009288: D1ED0067 0102552B
	v_mfma_f32_16x16x16_f16 v[148:151], v[68:69], a[56:57], v[148:151]// 000000009290: D3CD0094 16527144
	ds_read_b128 v[108:111], v12 offset:8704                   // 000000009298: D9FE2200 6C00000C
	buffer_load_dword v44, v228, s[20:23], 0 idxen             // 0000000092A0: E0502000 80052CE4
	v_mfma_f32_16x16x16_f16 v[148:151], v[70:71], a[60:61], v[148:151]// 0000000092A8: D3CD0094 16527946
	v_perm_b32 v104, v49, v48, s63                             // 0000000092B0: D1ED0068 00FE6131
	v_perm_b32 v105, v49, v48, s64                             // 0000000092B8: D1ED0069 01026131
	v_mfma_f32_16x16x16_f16 v[148:151], v[72:73], a[64:65], v[148:151]// 0000000092C0: D3CD0094 16528148
	ds_read_b128 v[112:115], v12 offset:9216                   // 0000000092C8: D9FE2400 7000000C
	buffer_load_dword v45, v229, s[20:23], 0 idxen             // 0000000092D0: E0502000 80052DE5
	v_mfma_f32_16x16x16_f16 v[148:151], v[74:75], a[68:69], v[148:151]// 0000000092D8: D3CD0094 1652894A
	v_perm_b32 v106, v51, v50, s63                             // 0000000092E0: D1ED006A 00FE6533
	v_perm_b32 v107, v51, v50, s64                             // 0000000092E8: D1ED006B 01026533
	v_mfma_f32_16x16x16_f16 v[152:155], v[52:53], a[26:27], 0  // 0000000092F0: D3CD0098 12023534
	ds_read_b128 v[116:119], v12 offset:10880                  // 0000000092F8: D9FE2A80 7400000C
	buffer_load_dword v46, v230, s[20:23], 0 idxen             // 000000009300: E0502000 80052EE6
	v_mfma_f32_16x16x16_f16 v[152:155], v[54:55], a[30:31], v[152:155]// 000000009308: D3CD0098 16623D36
	v_mov_b32_dpp v143, v140 quad_perm:[3,3,3,3] row_mask:0xf bank_mask:0xf// 000000009310: 7F1E02FA FF00FF8C
	v_mov_b32_dpp v142, v140 quad_perm:[2,2,2,2] row_mask:0xf bank_mask:0xf// 000000009318: 7F1C02FA FF00AA8C
	v_mov_b32_dpp v141, v140 quad_perm:[1,1,1,1] row_mask:0xf bank_mask:0xf// 000000009320: 7F1A02FA FF00558C
	v_mov_b32_dpp v140, v140 quad_perm:[0,0,0,0] row_mask:0xf bank_mask:0xf// 000000009328: 7F1802FA FF00008C
	v_mfma_f32_16x16x16_f16 v[152:155], v[56:57], a[34:35], v[152:155]// 000000009330: D3CD0098 16624538
	ds_read_b128 v[120:123], v12 offset:11392                  // 000000009338: D9FE2C80 7800000C
	buffer_load_dword v47, v231, s[20:23], 0 idxen             // 000000009340: E0502000 80052FE7
	v_mfma_f32_16x16x16_f16 v[152:155], v[58:59], a[38:39], v[152:155]// 000000009348: D3CD0098 16624D3A
	v_mov_b32_dpp v147, v144 quad_perm:[3,3,3,3] row_mask:0xf bank_mask:0xf// 000000009350: 7F2602FA FF00FF90
	v_mov_b32_dpp v146, v144 quad_perm:[2,2,2,2] row_mask:0xf bank_mask:0xf// 000000009358: 7F2402FA FF00AA90
	v_mov_b32_dpp v145, v144 quad_perm:[1,1,1,1] row_mask:0xf bank_mask:0xf// 000000009360: 7F2202FA FF005590
	v_mov_b32_dpp v144, v144 quad_perm:[0,0,0,0] row_mask:0xf bank_mask:0xf// 000000009368: 7F2002FA FF000090
	s_add_u32 s60, 0x80, s59                                   // 000000009370: 803C3BFF 00000080
	v_mfma_f32_16x16x16_f16 v[152:155], v[60:61], a[42:43], v[152:155]// 000000009378: D3CD0098 1662553C
	buffer_load_dword v11, s[24:27], 0 idxen lds               // 000000009380: E0512000 8006000B
	v_mfma_f32_16x16x16_f16 v[152:155], v[62:63], a[46:47], v[152:155]// 000000009388: D3CD0098 16625D3E
	s_cmp_lt_u32 s60, s58                                      // 000000009390: BF0A3A3C
	s_cselect_b32 s68, s68, 0                                  // 000000009394: 85448044
	s_cselect_b32 s100, s100, 0                                // 000000009398: 85648064
	s_cselect_b32 s69, s69, 0                                  // 00000000939C: 85458045
	v_mfma_f32_16x16x16_f16 v[152:155], v[64:65], a[50:51], v[152:155]// 0000000093A0: D3CD0098 16626540
	v_add_u32_e32 v1, s68, v1                                  // 0000000093A8: 68020244
	v_add_u32_e32 v2, s68, v2                                  // 0000000093AC: 68040444
	v_add_u32_e32 v3, s68, v3                                  // 0000000093B0: 68060644
	v_add_u32_e32 v4, s68, v4                                  // 0000000093B4: 68080844
	v_mfma_f32_16x16x16_f16 v[152:155], v[66:67], a[54:55], v[152:155]// 0000000093B8: D3CD0098 16626D42
	v_add_u32_e32 v228, s100, v228                             // 0000000093C0: 69C9C864
	v_add_u32_e32 v229, s100, v229                             // 0000000093C4: 69CBCA64
	v_add_u32_e32 v230, s100, v230                             // 0000000093C8: 69CDCC64
	v_add_u32_e32 v231, s100, v231                             // 0000000093CC: 69CFCE64
	v_mfma_f32_16x16x16_f16 v[152:155], v[68:69], a[58:59], v[152:155]// 0000000093D0: D3CD0098 16627544
	s_mov_b32 m0, s79                                          // 0000000093D8: BEFC004F
	v_add_u32_e32 v11, s69, v11                                // 0000000093DC: 68161645
	v_mfma_f32_16x16x16_f16 v[152:155], v[70:71], a[62:63], v[152:155]// 0000000093E0: D3CD0098 16627D46
	s_cmp_ge_u32 s59, s73                                      // 0000000093E8: BF09493B
	s_cselect_b32 s66, s67, s66                                // 0000000093EC: 85424243
	v_mfma_f32_16x16x16_f16 v[152:155], v[72:73], a[66:67], v[152:155]// 0000000093F0: D3CD0098 16628548
	s_addk_i32 s59, 0x20                                       // 0000000093F8: B73B0020
	s_nop 0                                                    // 0000000093FC: BF800000
	s_cmp_lt_i32 s59, s58                                      // 000000009400: BF043A3B
	v_mfma_f32_16x16x16_f16 v[152:155], v[74:75], a[70:71], v[152:155]// 000000009404: D3CD0098 16628D4A
	s_cbranch_scc0 label_0E0B                                  // 00000000940C: BF84F875
	s_branch label_0E0E                                        // 000000009410: BF82F877

0000000000009414 <label_15A9>:
	buffer_atomic_add_f32 v160, v8, s[32:35], 0 idxen          // 000000009414: E1342000 8008A008
	buffer_atomic_add_f32 v161, v9, s[32:35], 0 idxen          // 00000000941C: E1342000 8008A109
	buffer_atomic_add_f32 v162, v8, s[32:35], 0 idxen offset:128// 000000009424: E1342080 8008A208
	buffer_atomic_add_f32 v163, v9, s[32:35], 0 idxen offset:128// 00000000942C: E1342080 8008A309
	v_add_u32_e32 v6, s66, v6                                  // 000000009434: 680C0C42
	v_add_u32_e32 v7, s66, v7                                  // 000000009438: 680E0E42
	v_add_u32_e32 v8, s66, v8                                  // 00000000943C: 68101042
	v_add_u32_e32 v9, s66, v9                                  // 000000009440: 68121242
	v_lshrrev_b32_e32 v32, 5, v0                               // 000000009444: 20400085
	v_mul_i32_i24_e32 v27, 0x44, v32                           // 000000009448: 0C3640FF 00000044
	v_and_b32_e32 v32, 31, v0                                  // 000000009450: 2640009F
	v_mul_i32_i24_e32 v33, 2, v32                              // 000000009454: 0C424082
	v_add_u32_e32 v27, v33, v27                                // 000000009458: 68363721
	s_mul_i32 s60, s46, 0x220                                  // 00000000945C: 923CFF2E 00000220
	v_add_u32_e32 v27, s60, v27                                // 000000009464: 6836363C
	v_lshlrev_b32_e32 v27, 2, v27                              // 000000009468: 24363682
	v_mul_f32_e32 v148, s47, v148                              // 00000000946C: 0B29282F
	v_mul_f32_e32 v149, s47, v149                              // 000000009470: 0B2B2A2F
	v_mul_f32_e32 v150, s47, v150                              // 000000009474: 0B2D2C2F
	v_mul_f32_e32 v151, s47, v151                              // 000000009478: 0B2F2E2F
	v_mul_f32_e32 v152, s47, v152                              // 00000000947C: 0B31302F
	v_mul_f32_e32 v153, s47, v153                              // 000000009480: 0B33322F
	v_mul_f32_e32 v154, s47, v154                              // 000000009484: 0B35342F
	v_mul_f32_e32 v155, s47, v155                              // 000000009488: 0B37362F
	ds_write_b64 v22, v[148:149] offset:31232                  // 00000000948C: D89A7A00 00009416
	ds_write_b64 v22, v[150:151] offset:31744                  // 000000009494: D89A7C00 00009616
	ds_write_b64 v22, v[152:153] offset:32256                  // 00000000949C: D89A7E00 00009816
	ds_write_b64 v22, v[154:155] offset:32768                  // 0000000094A4: D89A8000 00009A16
	s_waitcnt lgkmcnt(0)                                       // 0000000094AC: BF8CC07F
	s_barrier                                                  // 0000000094B0: BF8A0000
	ds_read_b64 v[156:157], v21 offset:31232                   // 0000000094B4: D8EC7A00 9C000015
	ds_read_b64 v[158:159], v21 offset:33280                   // 0000000094BC: D8EC8200 9E000015
	ds_read_b64 v[160:161], v21 offset:35328                   // 0000000094C4: D8EC8A00 A0000015
	ds_read_b64 v[162:163], v21 offset:37376                   // 0000000094CC: D8EC9200 A2000015
	s_waitcnt lgkmcnt(0)                                       // 0000000094D4: BF8CC07F
	s_barrier                                                  // 0000000094D8: BF8A0000
	buffer_atomic_add_f32 v156, v6, s[32:35], 0 idxen          // 0000000094DC: E1342000 80089C06
	buffer_atomic_add_f32 v157, v7, s[32:35], 0 idxen          // 0000000094E4: E1342000 80089D07
	buffer_atomic_add_f32 v158, v6, s[32:35], 0 idxen offset:128// 0000000094EC: E1342080 80089E06
	buffer_atomic_add_f32 v159, v7, s[32:35], 0 idxen offset:128// 0000000094F4: E1342080 80089F07
	buffer_atomic_add_f32 v160, v8, s[32:35], 0 idxen          // 0000000094FC: E1342000 8008A008
	buffer_atomic_add_f32 v161, v9, s[32:35], 0 idxen          // 000000009504: E1342000 8008A109
	buffer_atomic_add_f32 v162, v8, s[32:35], 0 idxen offset:128// 00000000950C: E1342080 8008A208
	buffer_atomic_add_f32 v163, v9, s[32:35], 0 idxen offset:128// 000000009514: E1342080 8008A309
	v_lshrrev_b32_e32 v32, 3, v0                               // 00000000951C: 20400083
	v_mul_i32_i24_e32 v26, 2, v32                              // 000000009520: 0C344082
	v_and_b32_e32 v32, 7, v0                                   // 000000009524: 26400087
	v_mul_i32_i24_e32 v33, 0x44, v32                           // 000000009528: 0C4240FF 00000044
	v_add_u32_e32 v26, v33, v26                                // 000000009530: 68343521
	s_mul_i32 s60, s46, 0x220                                  // 000000009534: 923CFF2E 00000220
	v_add_u32_e32 v26, s60, v26                                // 00000000953C: 6834343C
	v_lshlrev_b32_e32 v26, 2, v26                              // 000000009540: 24343482
	v_accvgpr_read_b32 v32, a112                               // 000000009544: D3D84020 18000170
	v_accvgpr_read_b32 v33, a113                               // 00000000954C: D3D84021 18000171
	v_mul_f32_e32 v32, s47, v32                                // 000000009554: 0A40402F
	v_mul_f32_e32 v33, s47, v33                                // 000000009558: 0A42422F
	v_cvt_pkrtz_f16_f32 v52, v32, v33                          // 00000000955C: D2960034 00024320
	v_accvgpr_read_b32 v32, a114                               // 000000009564: D3D84020 18000172
	v_accvgpr_read_b32 v33, a115                               // 00000000956C: D3D84021 18000173
	v_mul_f32_e32 v32, s47, v32                                // 000000009574: 0A40402F
	v_mul_f32_e32 v33, s47, v33                                // 000000009578: 0A42422F
	v_cvt_pkrtz_f16_f32 v53, v32, v33                          // 00000000957C: D2960035 00024320
	v_accvgpr_read_b32 v32, a116                               // 000000009584: D3D84020 18000174
	v_accvgpr_read_b32 v33, a117                               // 00000000958C: D3D84021 18000175
	v_mul_f32_e32 v32, s47, v32                                // 000000009594: 0A40402F
	v_mul_f32_e32 v33, s47, v33                                // 000000009598: 0A42422F
	v_cvt_pkrtz_f16_f32 v54, v32, v33                          // 00000000959C: D2960036 00024320
	v_accvgpr_read_b32 v32, a118                               // 0000000095A4: D3D84020 18000176
	v_accvgpr_read_b32 v33, a119                               // 0000000095AC: D3D84021 18000177
	v_mul_f32_e32 v32, s47, v32                                // 0000000095B4: 0A40402F
	v_mul_f32_e32 v33, s47, v33                                // 0000000095B8: 0A42422F
	v_cvt_pkrtz_f16_f32 v55, v32, v33                          // 0000000095BC: D2960037 00024320
	v_accvgpr_read_b32 v32, a120                               // 0000000095C4: D3D84020 18000178
	v_accvgpr_read_b32 v33, a121                               // 0000000095CC: D3D84021 18000179
	v_mul_f32_e32 v32, s47, v32                                // 0000000095D4: 0A40402F
	v_mul_f32_e32 v33, s47, v33                                // 0000000095D8: 0A42422F
	v_cvt_pkrtz_f16_f32 v56, v32, v33                          // 0000000095DC: D2960038 00024320
	v_accvgpr_read_b32 v32, a122                               // 0000000095E4: D3D84020 1800017A
	v_accvgpr_read_b32 v33, a123                               // 0000000095EC: D3D84021 1800017B
	v_mul_f32_e32 v32, s47, v32                                // 0000000095F4: 0A40402F
	v_mul_f32_e32 v33, s47, v33                                // 0000000095F8: 0A42422F
	v_cvt_pkrtz_f16_f32 v57, v32, v33                          // 0000000095FC: D2960039 00024320
	v_accvgpr_read_b32 v32, a124                               // 000000009604: D3D84020 1800017C
	v_accvgpr_read_b32 v33, a125                               // 00000000960C: D3D84021 1800017D
	v_mul_f32_e32 v32, s47, v32                                // 000000009614: 0A40402F
	v_mul_f32_e32 v33, s47, v33                                // 000000009618: 0A42422F
	v_cvt_pkrtz_f16_f32 v58, v32, v33                          // 00000000961C: D296003A 00024320
	v_accvgpr_read_b32 v32, a126                               // 000000009624: D3D84020 1800017E
	v_accvgpr_read_b32 v33, a127                               // 00000000962C: D3D84021 1800017F
	v_mul_f32_e32 v32, s47, v32                                // 000000009634: 0A40402F
	v_mul_f32_e32 v33, s47, v33                                // 000000009638: 0A42422F
	v_cvt_pkrtz_f16_f32 v59, v32, v33                          // 00000000963C: D296003B 00024320
	ds_write_b64 v27, v[52:53]                                 // 000000009644: D89A0000 0000341B
	ds_write_b64 v27, v[54:55] offset:544                      // 00000000964C: D89A0220 0000361B
	ds_write_b64 v27, v[56:57] offset:1088                     // 000000009654: D89A0440 0000381B
	ds_write_b64 v27, v[58:59] offset:1632                     // 00000000965C: D89A0660 00003A1B
	s_waitcnt lgkmcnt(0)                                       // 000000009664: BF8CC07F
	s_barrier                                                  // 000000009668: BF8A0000
	ds_read_b64 v[52:53], v26                                  // 00000000966C: D8EC0000 3400001A
	ds_read_b64 v[54:55], v26 offset:128                       // 000000009674: D8EC0080 3600001A
	ds_read_b64 v[56:57], v26 offset:64                        // 00000000967C: D8EC0040 3800001A
	ds_read_b64 v[58:59], v26 offset:192                       // 000000009684: D8EC00C0 3A00001A
	s_waitcnt lgkmcnt(0)                                       // 00000000968C: BF8CC07F
	s_mov_b32 s70, s52                                         // 000000009690: BEC60034
	buffer_store_dwordx4 v[52:55], v5, s[36:39], 0 idxen       // 000000009694: E07C2000 80093405
	s_mul_i32 s60, 2, s70                                      // 00000000969C: 923C4682
	v_add_u32_e32 v5, s60, v5                                  // 0000000096A0: 680A0A3C
	buffer_store_dwordx4 v[56:59], v5, s[36:39], 0 idxen       // 0000000096A4: E07C2000 80093805
	s_mul_i32 s60, 2, s70                                      // 0000000096AC: 923C4682
	v_add_u32_e32 v5, s60, v5                                  // 0000000096B0: 680A0A3C
	s_mul_i32 s60, 12, s70                                     // 0000000096B4: 923C468C
	v_add_u32_e32 v5, s60, v5                                  // 0000000096B8: 680A0A3C
	s_barrier                                                  // 0000000096BC: BF8A0000
	s_cmp_ge_i32 1, s72                                        // 0000000096C0: BF034881
	s_cbranch_scc1 label_1718                                  // 0000000096C4: BF8500C2
	v_accvgpr_read_b32 v32, a128                               // 0000000096C8: D3D84020 18000180
	v_accvgpr_read_b32 v33, a129                               // 0000000096D0: D3D84021 18000181
	v_mul_f32_e32 v32, s47, v32                                // 0000000096D8: 0A40402F
	v_mul_f32_e32 v33, s47, v33                                // 0000000096DC: 0A42422F
	v_cvt_pkrtz_f16_f32 v60, v32, v33                          // 0000000096E0: D296003C 00024320
	v_accvgpr_read_b32 v32, a130                               // 0000000096E8: D3D84020 18000182
	v_accvgpr_read_b32 v33, a131                               // 0000000096F0: D3D84021 18000183
	v_mul_f32_e32 v32, s47, v32                                // 0000000096F8: 0A40402F
	v_mul_f32_e32 v33, s47, v33                                // 0000000096FC: 0A42422F
	v_cvt_pkrtz_f16_f32 v61, v32, v33                          // 000000009700: D296003D 00024320
	v_accvgpr_read_b32 v32, a132                               // 000000009708: D3D84020 18000184
	v_accvgpr_read_b32 v33, a133                               // 000000009710: D3D84021 18000185
	v_mul_f32_e32 v32, s47, v32                                // 000000009718: 0A40402F
	v_mul_f32_e32 v33, s47, v33                                // 00000000971C: 0A42422F
	v_cvt_pkrtz_f16_f32 v62, v32, v33                          // 000000009720: D296003E 00024320
	v_accvgpr_read_b32 v32, a134                               // 000000009728: D3D84020 18000186
	v_accvgpr_read_b32 v33, a135                               // 000000009730: D3D84021 18000187
	v_mul_f32_e32 v32, s47, v32                                // 000000009738: 0A40402F
	v_mul_f32_e32 v33, s47, v33                                // 00000000973C: 0A42422F
	v_cvt_pkrtz_f16_f32 v63, v32, v33                          // 000000009740: D296003F 00024320
	v_accvgpr_read_b32 v32, a136                               // 000000009748: D3D84020 18000188
	v_accvgpr_read_b32 v33, a137                               // 000000009750: D3D84021 18000189
	v_mul_f32_e32 v32, s47, v32                                // 000000009758: 0A40402F
	v_mul_f32_e32 v33, s47, v33                                // 00000000975C: 0A42422F
	v_cvt_pkrtz_f16_f32 v64, v32, v33                          // 000000009760: D2960040 00024320
	v_accvgpr_read_b32 v32, a138                               // 000000009768: D3D84020 1800018A
	v_accvgpr_read_b32 v33, a139                               // 000000009770: D3D84021 1800018B
	v_mul_f32_e32 v32, s47, v32                                // 000000009778: 0A40402F
	v_mul_f32_e32 v33, s47, v33                                // 00000000977C: 0A42422F
	v_cvt_pkrtz_f16_f32 v65, v32, v33                          // 000000009780: D2960041 00024320
	v_accvgpr_read_b32 v32, a140                               // 000000009788: D3D84020 1800018C
	v_accvgpr_read_b32 v33, a141                               // 000000009790: D3D84021 1800018D
	v_mul_f32_e32 v32, s47, v32                                // 000000009798: 0A40402F
	v_mul_f32_e32 v33, s47, v33                                // 00000000979C: 0A42422F
	v_cvt_pkrtz_f16_f32 v66, v32, v33                          // 0000000097A0: D2960042 00024320
	v_accvgpr_read_b32 v32, a142                               // 0000000097A8: D3D84020 1800018E
	v_accvgpr_read_b32 v33, a143                               // 0000000097B0: D3D84021 1800018F
	v_mul_f32_e32 v32, s47, v32                                // 0000000097B8: 0A40402F
	v_mul_f32_e32 v33, s47, v33                                // 0000000097BC: 0A42422F
	v_cvt_pkrtz_f16_f32 v67, v32, v33                          // 0000000097C0: D2960043 00024320
	ds_write_b64 v27, v[60:61] offset:8704                     // 0000000097C8: D89A2200 00003C1B
	ds_write_b64 v27, v[62:63] offset:9248                     // 0000000097D0: D89A2420 00003E1B
	ds_write_b64 v27, v[64:65] offset:9792                     // 0000000097D8: D89A2640 0000401B
	ds_write_b64 v27, v[66:67] offset:10336                    // 0000000097E0: D89A2860 0000421B
	s_waitcnt lgkmcnt(0)                                       // 0000000097E8: BF8CC07F
	s_barrier                                                  // 0000000097EC: BF8A0000
	ds_read_b64 v[60:61], v26 offset:8704                      // 0000000097F0: D8EC2200 3C00001A
	ds_read_b64 v[62:63], v26 offset:8832                      // 0000000097F8: D8EC2280 3E00001A
	ds_read_b64 v[64:65], v26 offset:8768                      // 000000009800: D8EC2240 4000001A
	ds_read_b64 v[66:67], v26 offset:8896                      // 000000009808: D8EC22C0 4200001A
	s_waitcnt lgkmcnt(0)                                       // 000000009810: BF8CC07F
	s_mov_b32 s70, s52                                         // 000000009814: BEC60034
	buffer_store_dwordx4 v[60:63], v5, s[36:39], 0 idxen       // 000000009818: E07C2000 80093C05
	s_mul_i32 s60, 2, s70                                      // 000000009820: 923C4682
	v_add_u32_e32 v5, s60, v5                                  // 000000009824: 680A0A3C
	buffer_store_dwordx4 v[64:67], v5, s[36:39], 0 idxen       // 000000009828: E07C2000 80094005
	s_mul_i32 s60, 2, s70                                      // 000000009830: 923C4682
	v_add_u32_e32 v5, s60, v5                                  // 000000009834: 680A0A3C
	s_mul_i32 s60, 12, s70                                     // 000000009838: 923C468C
	v_add_u32_e32 v5, s60, v5                                  // 00000000983C: 680A0A3C
	s_barrier                                                  // 000000009840: BF8A0000
	s_cmp_ge_i32 2, s72                                        // 000000009844: BF034882
	s_cbranch_scc1 label_1718                                  // 000000009848: BF850061
	v_accvgpr_read_b32 v32, a144                               // 00000000984C: D3D84020 18000190
	v_accvgpr_read_b32 v33, a145                               // 000000009854: D3D84021 18000191
	v_mul_f32_e32 v32, s47, v32                                // 00000000985C: 0A40402F
	v_mul_f32_e32 v33, s47, v33                                // 000000009860: 0A42422F
	v_cvt_pkrtz_f16_f32 v68, v32, v33                          // 000000009864: D2960044 00024320
	v_accvgpr_read_b32 v32, a146                               // 00000000986C: D3D84020 18000192
	v_accvgpr_read_b32 v33, a147                               // 000000009874: D3D84021 18000193
	v_mul_f32_e32 v32, s47, v32                                // 00000000987C: 0A40402F
	v_mul_f32_e32 v33, s47, v33                                // 000000009880: 0A42422F
	v_cvt_pkrtz_f16_f32 v69, v32, v33                          // 000000009884: D2960045 00024320
	v_accvgpr_read_b32 v32, a148                               // 00000000988C: D3D84020 18000194
	v_accvgpr_read_b32 v33, a149                               // 000000009894: D3D84021 18000195
	v_mul_f32_e32 v32, s47, v32                                // 00000000989C: 0A40402F
	v_mul_f32_e32 v33, s47, v33                                // 0000000098A0: 0A42422F
	v_cvt_pkrtz_f16_f32 v70, v32, v33                          // 0000000098A4: D2960046 00024320
	v_accvgpr_read_b32 v32, a150                               // 0000000098AC: D3D84020 18000196
	v_accvgpr_read_b32 v33, a151                               // 0000000098B4: D3D84021 18000197
	v_mul_f32_e32 v32, s47, v32                                // 0000000098BC: 0A40402F
	v_mul_f32_e32 v33, s47, v33                                // 0000000098C0: 0A42422F
	v_cvt_pkrtz_f16_f32 v71, v32, v33                          // 0000000098C4: D2960047 00024320
	v_accvgpr_read_b32 v32, a152                               // 0000000098CC: D3D84020 18000198
	v_accvgpr_read_b32 v33, a153                               // 0000000098D4: D3D84021 18000199
	v_mul_f32_e32 v32, s47, v32                                // 0000000098DC: 0A40402F
	v_mul_f32_e32 v33, s47, v33                                // 0000000098E0: 0A42422F
	v_cvt_pkrtz_f16_f32 v72, v32, v33                          // 0000000098E4: D2960048 00024320
	v_accvgpr_read_b32 v32, a154                               // 0000000098EC: D3D84020 1800019A
	v_accvgpr_read_b32 v33, a155                               // 0000000098F4: D3D84021 1800019B
	v_mul_f32_e32 v32, s47, v32                                // 0000000098FC: 0A40402F
	v_mul_f32_e32 v33, s47, v33                                // 000000009900: 0A42422F
	v_cvt_pkrtz_f16_f32 v73, v32, v33                          // 000000009904: D2960049 00024320
	v_accvgpr_read_b32 v32, a156                               // 00000000990C: D3D84020 1800019C
	v_accvgpr_read_b32 v33, a157                               // 000000009914: D3D84021 1800019D
	v_mul_f32_e32 v32, s47, v32                                // 00000000991C: 0A40402F
	v_mul_f32_e32 v33, s47, v33                                // 000000009920: 0A42422F
	v_cvt_pkrtz_f16_f32 v74, v32, v33                          // 000000009924: D296004A 00024320
	v_accvgpr_read_b32 v32, a158                               // 00000000992C: D3D84020 1800019E
	v_accvgpr_read_b32 v33, a159                               // 000000009934: D3D84021 1800019F
	v_mul_f32_e32 v32, s47, v32                                // 00000000993C: 0A40402F
	v_mul_f32_e32 v33, s47, v33                                // 000000009940: 0A42422F
	v_cvt_pkrtz_f16_f32 v75, v32, v33                          // 000000009944: D296004B 00024320
	ds_write_b64 v27, v[68:69] offset:17408                    // 00000000994C: D89A4400 0000441B
	ds_write_b64 v27, v[70:71] offset:17952                    // 000000009954: D89A4620 0000461B
	ds_write_b64 v27, v[72:73] offset:18496                    // 00000000995C: D89A4840 0000481B
	ds_write_b64 v27, v[74:75] offset:19040                    // 000000009964: D89A4A60 00004A1B
	s_waitcnt lgkmcnt(0)                                       // 00000000996C: BF8CC07F
	s_barrier                                                  // 000000009970: BF8A0000
	ds_read_b64 v[68:69], v26 offset:17408                     // 000000009974: D8EC4400 4400001A
	ds_read_b64 v[70:71], v26 offset:17536                     // 00000000997C: D8EC4480 4600001A
	ds_read_b64 v[72:73], v26 offset:17472                     // 000000009984: D8EC4440 4800001A
	ds_read_b64 v[74:75], v26 offset:17600                     // 00000000998C: D8EC44C0 4A00001A
	s_waitcnt lgkmcnt(0)                                       // 000000009994: BF8CC07F
	s_mov_b32 s70, s52                                         // 000000009998: BEC60034
	buffer_store_dwordx4 v[68:71], v5, s[36:39], 0 idxen       // 00000000999C: E07C2000 80094405
	s_mul_i32 s60, 2, s70                                      // 0000000099A4: 923C4682
	v_add_u32_e32 v5, s60, v5                                  // 0000000099A8: 680A0A3C
	buffer_store_dwordx4 v[72:75], v5, s[36:39], 0 idxen       // 0000000099AC: E07C2000 80094805
	s_mul_i32 s60, 2, s70                                      // 0000000099B4: 923C4682
	v_add_u32_e32 v5, s60, v5                                  // 0000000099B8: 680A0A3C
	s_mul_i32 s60, 12, s70                                     // 0000000099BC: 923C468C
	v_add_u32_e32 v5, s60, v5                                  // 0000000099C0: 680A0A3C
	s_barrier                                                  // 0000000099C4: BF8A0000
	s_cmp_ge_i32 3, s72                                        // 0000000099C8: BF034883
	s_cbranch_scc1 label_1718                                  // 0000000099CC: BF850000

00000000000099d0 <label_1718>:
	v_mov_b32_e32 v32, v180                                    // 0000000099D0: 7E4003B4
	v_mov_b32_e32 v33, v181                                    // 0000000099D4: 7E4203B5
	v_cvt_pkrtz_f16_f32 v180, v32, v33                         // 0000000099D8: D29600B4 00024320
	v_mov_b32_e32 v32, v182                                    // 0000000099E0: 7E4003B6
	v_mov_b32_e32 v33, v183                                    // 0000000099E4: 7E4203B7
	v_cvt_pkrtz_f16_f32 v181, v32, v33                         // 0000000099E8: D29600B5 00024320
	v_mov_b32_e32 v32, v184                                    // 0000000099F0: 7E4003B8
	v_mov_b32_e32 v33, v185                                    // 0000000099F4: 7E4203B9
	v_cvt_pkrtz_f16_f32 v182, v32, v33                         // 0000000099F8: D29600B6 00024320
	v_mov_b32_e32 v32, v186                                    // 000000009A00: 7E4003BA
	v_mov_b32_e32 v33, v187                                    // 000000009A04: 7E4203BB
	v_cvt_pkrtz_f16_f32 v183, v32, v33                         // 000000009A08: D29600B7 00024320
	v_mov_b32_e32 v32, v188                                    // 000000009A10: 7E4003BC
	v_mov_b32_e32 v33, v189                                    // 000000009A14: 7E4203BD
	v_cvt_pkrtz_f16_f32 v184, v32, v33                         // 000000009A18: D29600B8 00024320
	v_mov_b32_e32 v32, v190                                    // 000000009A20: 7E4003BE
	v_mov_b32_e32 v33, v191                                    // 000000009A24: 7E4203BF
	v_cvt_pkrtz_f16_f32 v185, v32, v33                         // 000000009A28: D29600B9 00024320
	v_mov_b32_e32 v32, v192                                    // 000000009A30: 7E4003C0
	v_mov_b32_e32 v33, v193                                    // 000000009A34: 7E4203C1
	v_cvt_pkrtz_f16_f32 v186, v32, v33                         // 000000009A38: D29600BA 00024320
	v_mov_b32_e32 v32, v194                                    // 000000009A40: 7E4003C2
	v_mov_b32_e32 v33, v195                                    // 000000009A44: 7E4203C3
	v_cvt_pkrtz_f16_f32 v187, v32, v33                         // 000000009A48: D29600BB 00024320
	ds_write_b64 v27, v[180:181]                               // 000000009A50: D89A0000 0000B41B
	ds_write_b64 v27, v[182:183] offset:544                    // 000000009A58: D89A0220 0000B61B
	ds_write_b64 v27, v[184:185] offset:1088                   // 000000009A60: D89A0440 0000B81B
	ds_write_b64 v27, v[186:187] offset:1632                   // 000000009A68: D89A0660 0000BA1B
	s_waitcnt lgkmcnt(0)                                       // 000000009A70: BF8CC07F
	s_barrier                                                  // 000000009A74: BF8A0000
	ds_read_b64 v[180:181], v26                                // 000000009A78: D8EC0000 B400001A
	ds_read_b64 v[182:183], v26 offset:128                     // 000000009A80: D8EC0080 B600001A
	ds_read_b64 v[184:185], v26 offset:64                      // 000000009A88: D8EC0040 B800001A
	ds_read_b64 v[186:187], v26 offset:192                     // 000000009A90: D8EC00C0 BA00001A
	s_waitcnt lgkmcnt(0)                                       // 000000009A98: BF8CC07F
	s_mov_b32 s70, s53                                         // 000000009A9C: BEC60035
	buffer_store_dwordx4 v[180:183], v10, s[40:43], 0 idxen    // 000000009AA0: E07C2000 800AB40A
	s_mul_i32 s60, 2, s70                                      // 000000009AA8: 923C4682
	v_add_u32_e32 v10, s60, v10                                // 000000009AAC: 6814143C
	buffer_store_dwordx4 v[184:187], v10, s[40:43], 0 idxen    // 000000009AB0: E07C2000 800AB80A
	s_mul_i32 s60, 2, s70                                      // 000000009AB8: 923C4682
	v_add_u32_e32 v10, s60, v10                                // 000000009ABC: 6814143C
	s_mul_i32 s60, 12, s70                                     // 000000009AC0: 923C468C
	v_add_u32_e32 v10, s60, v10                                // 000000009AC4: 6814143C
	s_cmp_ge_i32 1, s72                                        // 000000009AC8: BF034881
	s_cbranch_scc1 label_17D8                                  // 000000009ACC: BF850080
	v_mov_b32_e32 v32, v196                                    // 000000009AD0: 7E4003C4
	v_mov_b32_e32 v33, v197                                    // 000000009AD4: 7E4203C5
	v_cvt_pkrtz_f16_f32 v188, v32, v33                         // 000000009AD8: D29600BC 00024320
	v_mov_b32_e32 v32, v198                                    // 000000009AE0: 7E4003C6
	v_mov_b32_e32 v33, v199                                    // 000000009AE4: 7E4203C7
	v_cvt_pkrtz_f16_f32 v189, v32, v33                         // 000000009AE8: D29600BD 00024320
	v_mov_b32_e32 v32, v200                                    // 000000009AF0: 7E4003C8
	v_mov_b32_e32 v33, v201                                    // 000000009AF4: 7E4203C9
	v_cvt_pkrtz_f16_f32 v190, v32, v33                         // 000000009AF8: D29600BE 00024320
	v_mov_b32_e32 v32, v202                                    // 000000009B00: 7E4003CA
	v_mov_b32_e32 v33, v203                                    // 000000009B04: 7E4203CB
	v_cvt_pkrtz_f16_f32 v191, v32, v33                         // 000000009B08: D29600BF 00024320
	v_mov_b32_e32 v32, v204                                    // 000000009B10: 7E4003CC
	v_mov_b32_e32 v33, v205                                    // 000000009B14: 7E4203CD
	v_cvt_pkrtz_f16_f32 v192, v32, v33                         // 000000009B18: D29600C0 00024320
	v_mov_b32_e32 v32, v206                                    // 000000009B20: 7E4003CE
	v_mov_b32_e32 v33, v207                                    // 000000009B24: 7E4203CF
	v_cvt_pkrtz_f16_f32 v193, v32, v33                         // 000000009B28: D29600C1 00024320
	v_mov_b32_e32 v32, v208                                    // 000000009B30: 7E4003D0
	v_mov_b32_e32 v33, v209                                    // 000000009B34: 7E4203D1
	v_cvt_pkrtz_f16_f32 v194, v32, v33                         // 000000009B38: D29600C2 00024320
	v_mov_b32_e32 v32, v210                                    // 000000009B40: 7E4003D2
	v_mov_b32_e32 v33, v211                                    // 000000009B44: 7E4203D3
	v_cvt_pkrtz_f16_f32 v195, v32, v33                         // 000000009B48: D29600C3 00024320
	ds_write_b64 v27, v[188:189] offset:8704                   // 000000009B50: D89A2200 0000BC1B
	ds_write_b64 v27, v[190:191] offset:9248                   // 000000009B58: D89A2420 0000BE1B
	ds_write_b64 v27, v[192:193] offset:9792                   // 000000009B60: D89A2640 0000C01B
	ds_write_b64 v27, v[194:195] offset:10336                  // 000000009B68: D89A2860 0000C21B
	s_waitcnt lgkmcnt(0)                                       // 000000009B70: BF8CC07F
	s_barrier                                                  // 000000009B74: BF8A0000
	ds_read_b64 v[188:189], v26 offset:8704                    // 000000009B78: D8EC2200 BC00001A
	ds_read_b64 v[190:191], v26 offset:8832                    // 000000009B80: D8EC2280 BE00001A
	ds_read_b64 v[192:193], v26 offset:8768                    // 000000009B88: D8EC2240 C000001A
	ds_read_b64 v[194:195], v26 offset:8896                    // 000000009B90: D8EC22C0 C200001A
	s_waitcnt lgkmcnt(0)                                       // 000000009B98: BF8CC07F
	s_mov_b32 s70, s53                                         // 000000009B9C: BEC60035
	buffer_store_dwordx4 v[188:191], v10, s[40:43], 0 idxen    // 000000009BA0: E07C2000 800ABC0A
	s_mul_i32 s60, 2, s70                                      // 000000009BA8: 923C4682
	v_add_u32_e32 v10, s60, v10                                // 000000009BAC: 6814143C
	buffer_store_dwordx4 v[192:195], v10, s[40:43], 0 idxen    // 000000009BB0: E07C2000 800AC00A
	s_mul_i32 s60, 2, s70                                      // 000000009BB8: 923C4682
	v_add_u32_e32 v10, s60, v10                                // 000000009BBC: 6814143C
	s_mul_i32 s60, 12, s70                                     // 000000009BC0: 923C468C
	v_add_u32_e32 v10, s60, v10                                // 000000009BC4: 6814143C
	s_cmp_ge_i32 2, s72                                        // 000000009BC8: BF034882
	s_cbranch_scc1 label_17D8                                  // 000000009BCC: BF850040
	v_mov_b32_e32 v32, v212                                    // 000000009BD0: 7E4003D4
	v_mov_b32_e32 v33, v213                                    // 000000009BD4: 7E4203D5
	v_cvt_pkrtz_f16_f32 v196, v32, v33                         // 000000009BD8: D29600C4 00024320
	v_mov_b32_e32 v32, v214                                    // 000000009BE0: 7E4003D6
	v_mov_b32_e32 v33, v215                                    // 000000009BE4: 7E4203D7
	v_cvt_pkrtz_f16_f32 v197, v32, v33                         // 000000009BE8: D29600C5 00024320
	v_mov_b32_e32 v32, v216                                    // 000000009BF0: 7E4003D8
	v_mov_b32_e32 v33, v217                                    // 000000009BF4: 7E4203D9
	v_cvt_pkrtz_f16_f32 v198, v32, v33                         // 000000009BF8: D29600C6 00024320
	v_mov_b32_e32 v32, v218                                    // 000000009C00: 7E4003DA
	v_mov_b32_e32 v33, v219                                    // 000000009C04: 7E4203DB
	v_cvt_pkrtz_f16_f32 v199, v32, v33                         // 000000009C08: D29600C7 00024320
	v_mov_b32_e32 v32, v220                                    // 000000009C10: 7E4003DC
	v_mov_b32_e32 v33, v221                                    // 000000009C14: 7E4203DD
	v_cvt_pkrtz_f16_f32 v200, v32, v33                         // 000000009C18: D29600C8 00024320
	v_mov_b32_e32 v32, v222                                    // 000000009C20: 7E4003DE
	v_mov_b32_e32 v33, v223                                    // 000000009C24: 7E4203DF
	v_cvt_pkrtz_f16_f32 v201, v32, v33                         // 000000009C28: D29600C9 00024320
	v_mov_b32_e32 v32, v224                                    // 000000009C30: 7E4003E0
	v_mov_b32_e32 v33, v225                                    // 000000009C34: 7E4203E1
	v_cvt_pkrtz_f16_f32 v202, v32, v33                         // 000000009C38: D29600CA 00024320
	v_mov_b32_e32 v32, v226                                    // 000000009C40: 7E4003E2
	v_mov_b32_e32 v33, v227                                    // 000000009C44: 7E4203E3
	v_cvt_pkrtz_f16_f32 v203, v32, v33                         // 000000009C48: D29600CB 00024320
	ds_write_b64 v27, v[196:197] offset:17408                  // 000000009C50: D89A4400 0000C41B
	ds_write_b64 v27, v[198:199] offset:17952                  // 000000009C58: D89A4620 0000C61B
	ds_write_b64 v27, v[200:201] offset:18496                  // 000000009C60: D89A4840 0000C81B
	ds_write_b64 v27, v[202:203] offset:19040                  // 000000009C68: D89A4A60 0000CA1B
	s_waitcnt lgkmcnt(0)                                       // 000000009C70: BF8CC07F
	s_barrier                                                  // 000000009C74: BF8A0000
	ds_read_b64 v[196:197], v26 offset:17408                   // 000000009C78: D8EC4400 C400001A
	ds_read_b64 v[198:199], v26 offset:17536                   // 000000009C80: D8EC4480 C600001A
	ds_read_b64 v[200:201], v26 offset:17472                   // 000000009C88: D8EC4440 C800001A
	ds_read_b64 v[202:203], v26 offset:17600                   // 000000009C90: D8EC44C0 CA00001A
	s_waitcnt lgkmcnt(0)                                       // 000000009C98: BF8CC07F
	s_mov_b32 s70, s53                                         // 000000009C9C: BEC60035
	buffer_store_dwordx4 v[196:199], v10, s[40:43], 0 idxen    // 000000009CA0: E07C2000 800AC40A
	s_mul_i32 s60, 2, s70                                      // 000000009CA8: 923C4682
	v_add_u32_e32 v10, s60, v10                                // 000000009CAC: 6814143C
	buffer_store_dwordx4 v[200:203], v10, s[40:43], 0 idxen    // 000000009CB0: E07C2000 800AC80A
	s_mul_i32 s60, 2, s70                                      // 000000009CB8: 923C4682
	v_add_u32_e32 v10, s60, v10                                // 000000009CBC: 6814143C
	s_mul_i32 s60, 12, s70                                     // 000000009CC0: 923C468C
	v_add_u32_e32 v10, s60, v10                                // 000000009CC4: 6814143C
	s_cmp_ge_i32 3, s72                                        // 000000009CC8: BF034883
	s_cbranch_scc1 label_17D8                                  // 000000009CCC: BF850000

0000000000009cd0 <label_17D8>:
	s_waitcnt vmcnt(0) expcnt(0) lgkmcnt(0)                    // 000000009CD0: BF8C0000
	s_sub_i32 s60, s77, 1                                      // 000000009CD4: 81BC814D
	s_sub_i32 s2, s60, s2                                      // 000000009CD8: 8182023C
	s_addk_i32 s75, 0x1                                        // 000000009CDC: B74B0001
	s_cmp_lt_i32 s75, s76                                      // 000000009CE0: BF044C4B
	s_cbranch_scc1 label_015D                                  // 000000009CE4: BF85E9A3

0000000000009ce8 <label_17DE>:
	s_waitcnt vmcnt(0) expcnt(0) lgkmcnt(0)                    // 000000009CE8: BF8C0000
	s_endpgm                                                   // 000000009CEC: BF810000
